;; amdgpu-corpus repo=ROCm/rocFFT kind=compiled arch=gfx1201 opt=O3
	.text
	.amdgcn_target "amdgcn-amd-amdhsa--gfx1201"
	.amdhsa_code_object_version 6
	.protected	fft_rtc_back_len1210_factors_2_5_11_11_wgs_110_tpt_110_halfLds_dp_ip_CI_sbrr_dirReg ; -- Begin function fft_rtc_back_len1210_factors_2_5_11_11_wgs_110_tpt_110_halfLds_dp_ip_CI_sbrr_dirReg
	.globl	fft_rtc_back_len1210_factors_2_5_11_11_wgs_110_tpt_110_halfLds_dp_ip_CI_sbrr_dirReg
	.p2align	8
	.type	fft_rtc_back_len1210_factors_2_5_11_11_wgs_110_tpt_110_halfLds_dp_ip_CI_sbrr_dirReg,@function
fft_rtc_back_len1210_factors_2_5_11_11_wgs_110_tpt_110_halfLds_dp_ip_CI_sbrr_dirReg: ; @fft_rtc_back_len1210_factors_2_5_11_11_wgs_110_tpt_110_halfLds_dp_ip_CI_sbrr_dirReg
; %bb.0:
	s_clause 0x2
	s_load_b64 s[12:13], s[0:1], 0x18
	s_load_b128 s[4:7], s[0:1], 0x0
	s_load_b64 s[10:11], s[0:1], 0x50
	v_mul_u32_u24_e32 v1, 0x254, v0
	v_mov_b32_e32 v3, 0
	s_delay_alu instid0(VALU_DEP_2) | instskip(NEXT) | instid1(VALU_DEP_1)
	v_lshrrev_b32_e32 v1, 16, v1
	v_add_nc_u32_e32 v5, ttmp9, v1
	v_mov_b32_e32 v1, 0
	v_mov_b32_e32 v2, 0
	;; [unrolled: 1-line block ×3, first 2 shown]
	s_wait_kmcnt 0x0
	s_load_b64 s[8:9], s[12:13], 0x0
	v_cmp_lt_u64_e64 s2, s[6:7], 2
	s_delay_alu instid0(VALU_DEP_1)
	s_and_b32 vcc_lo, exec_lo, s2
	s_cbranch_vccnz .LBB0_8
; %bb.1:
	s_load_b64 s[2:3], s[0:1], 0x10
	v_mov_b32_e32 v1, 0
	v_mov_b32_e32 v2, 0
	s_add_nc_u64 s[14:15], s[12:13], 8
	s_mov_b64 s[16:17], 1
	s_wait_kmcnt 0x0
	s_add_nc_u64 s[18:19], s[2:3], 8
	s_mov_b32 s3, 0
.LBB0_2:                                ; =>This Inner Loop Header: Depth=1
	s_load_b64 s[20:21], s[18:19], 0x0
                                        ; implicit-def: $vgpr7_vgpr8
	s_mov_b32 s2, exec_lo
	s_wait_kmcnt 0x0
	v_or_b32_e32 v4, s21, v6
	s_delay_alu instid0(VALU_DEP_1)
	v_cmpx_ne_u64_e32 0, v[3:4]
	s_wait_alu 0xfffe
	s_xor_b32 s22, exec_lo, s2
	s_cbranch_execz .LBB0_4
; %bb.3:                                ;   in Loop: Header=BB0_2 Depth=1
	s_cvt_f32_u32 s2, s20
	s_cvt_f32_u32 s23, s21
	s_sub_nc_u64 s[26:27], 0, s[20:21]
	s_wait_alu 0xfffe
	s_delay_alu instid0(SALU_CYCLE_1) | instskip(SKIP_1) | instid1(SALU_CYCLE_2)
	s_fmamk_f32 s2, s23, 0x4f800000, s2
	s_wait_alu 0xfffe
	v_s_rcp_f32 s2, s2
	s_delay_alu instid0(TRANS32_DEP_1) | instskip(SKIP_1) | instid1(SALU_CYCLE_2)
	s_mul_f32 s2, s2, 0x5f7ffffc
	s_wait_alu 0xfffe
	s_mul_f32 s23, s2, 0x2f800000
	s_wait_alu 0xfffe
	s_delay_alu instid0(SALU_CYCLE_2) | instskip(SKIP_1) | instid1(SALU_CYCLE_2)
	s_trunc_f32 s23, s23
	s_wait_alu 0xfffe
	s_fmamk_f32 s2, s23, 0xcf800000, s2
	s_cvt_u32_f32 s25, s23
	s_wait_alu 0xfffe
	s_delay_alu instid0(SALU_CYCLE_1) | instskip(SKIP_1) | instid1(SALU_CYCLE_2)
	s_cvt_u32_f32 s24, s2
	s_wait_alu 0xfffe
	s_mul_u64 s[28:29], s[26:27], s[24:25]
	s_wait_alu 0xfffe
	s_mul_hi_u32 s31, s24, s29
	s_mul_i32 s30, s24, s29
	s_mul_hi_u32 s2, s24, s28
	s_mul_i32 s33, s25, s28
	s_wait_alu 0xfffe
	s_add_nc_u64 s[30:31], s[2:3], s[30:31]
	s_mul_hi_u32 s23, s25, s28
	s_mul_hi_u32 s34, s25, s29
	s_add_co_u32 s2, s30, s33
	s_wait_alu 0xfffe
	s_add_co_ci_u32 s2, s31, s23
	s_mul_i32 s28, s25, s29
	s_add_co_ci_u32 s29, s34, 0
	s_wait_alu 0xfffe
	s_add_nc_u64 s[28:29], s[2:3], s[28:29]
	s_wait_alu 0xfffe
	v_add_co_u32 v4, s2, s24, s28
	s_delay_alu instid0(VALU_DEP_1) | instskip(SKIP_1) | instid1(VALU_DEP_1)
	s_cmp_lg_u32 s2, 0
	s_add_co_ci_u32 s25, s25, s29
	v_readfirstlane_b32 s24, v4
	s_wait_alu 0xfffe
	s_delay_alu instid0(VALU_DEP_1)
	s_mul_u64 s[26:27], s[26:27], s[24:25]
	s_wait_alu 0xfffe
	s_mul_hi_u32 s29, s24, s27
	s_mul_i32 s28, s24, s27
	s_mul_hi_u32 s2, s24, s26
	s_mul_i32 s30, s25, s26
	s_wait_alu 0xfffe
	s_add_nc_u64 s[28:29], s[2:3], s[28:29]
	s_mul_hi_u32 s23, s25, s26
	s_mul_hi_u32 s24, s25, s27
	s_wait_alu 0xfffe
	s_add_co_u32 s2, s28, s30
	s_add_co_ci_u32 s2, s29, s23
	s_mul_i32 s26, s25, s27
	s_add_co_ci_u32 s27, s24, 0
	s_wait_alu 0xfffe
	s_add_nc_u64 s[26:27], s[2:3], s[26:27]
	s_wait_alu 0xfffe
	v_add_co_u32 v4, s2, v4, s26
	s_delay_alu instid0(VALU_DEP_1) | instskip(SKIP_1) | instid1(VALU_DEP_1)
	s_cmp_lg_u32 s2, 0
	s_add_co_ci_u32 s2, s25, s27
	v_mul_hi_u32 v13, v5, v4
	s_wait_alu 0xfffe
	v_mad_co_u64_u32 v[7:8], null, v5, s2, 0
	v_mad_co_u64_u32 v[9:10], null, v6, v4, 0
	;; [unrolled: 1-line block ×3, first 2 shown]
	s_delay_alu instid0(VALU_DEP_3) | instskip(SKIP_1) | instid1(VALU_DEP_4)
	v_add_co_u32 v4, vcc_lo, v13, v7
	s_wait_alu 0xfffd
	v_add_co_ci_u32_e32 v7, vcc_lo, 0, v8, vcc_lo
	s_delay_alu instid0(VALU_DEP_2) | instskip(SKIP_1) | instid1(VALU_DEP_2)
	v_add_co_u32 v4, vcc_lo, v4, v9
	s_wait_alu 0xfffd
	v_add_co_ci_u32_e32 v4, vcc_lo, v7, v10, vcc_lo
	s_wait_alu 0xfffd
	v_add_co_ci_u32_e32 v7, vcc_lo, 0, v12, vcc_lo
	s_delay_alu instid0(VALU_DEP_2) | instskip(SKIP_1) | instid1(VALU_DEP_2)
	v_add_co_u32 v4, vcc_lo, v4, v11
	s_wait_alu 0xfffd
	v_add_co_ci_u32_e32 v9, vcc_lo, 0, v7, vcc_lo
	s_delay_alu instid0(VALU_DEP_2) | instskip(SKIP_1) | instid1(VALU_DEP_3)
	v_mul_lo_u32 v10, s21, v4
	v_mad_co_u64_u32 v[7:8], null, s20, v4, 0
	v_mul_lo_u32 v11, s20, v9
	s_delay_alu instid0(VALU_DEP_2) | instskip(NEXT) | instid1(VALU_DEP_2)
	v_sub_co_u32 v7, vcc_lo, v5, v7
	v_add3_u32 v8, v8, v11, v10
	s_delay_alu instid0(VALU_DEP_1) | instskip(SKIP_1) | instid1(VALU_DEP_1)
	v_sub_nc_u32_e32 v10, v6, v8
	s_wait_alu 0xfffd
	v_subrev_co_ci_u32_e64 v10, s2, s21, v10, vcc_lo
	v_add_co_u32 v11, s2, v4, 2
	s_wait_alu 0xf1ff
	v_add_co_ci_u32_e64 v12, s2, 0, v9, s2
	v_sub_co_u32 v13, s2, v7, s20
	v_sub_co_ci_u32_e32 v8, vcc_lo, v6, v8, vcc_lo
	s_wait_alu 0xf1ff
	v_subrev_co_ci_u32_e64 v10, s2, 0, v10, s2
	s_delay_alu instid0(VALU_DEP_3) | instskip(NEXT) | instid1(VALU_DEP_3)
	v_cmp_le_u32_e32 vcc_lo, s20, v13
	v_cmp_eq_u32_e64 s2, s21, v8
	s_wait_alu 0xfffd
	v_cndmask_b32_e64 v13, 0, -1, vcc_lo
	v_cmp_le_u32_e32 vcc_lo, s21, v10
	s_wait_alu 0xfffd
	v_cndmask_b32_e64 v14, 0, -1, vcc_lo
	v_cmp_le_u32_e32 vcc_lo, s20, v7
	;; [unrolled: 3-line block ×3, first 2 shown]
	s_wait_alu 0xfffd
	v_cndmask_b32_e64 v15, 0, -1, vcc_lo
	v_cmp_eq_u32_e32 vcc_lo, s21, v10
	s_wait_alu 0xf1ff
	s_delay_alu instid0(VALU_DEP_2)
	v_cndmask_b32_e64 v7, v15, v7, s2
	s_wait_alu 0xfffd
	v_cndmask_b32_e32 v10, v14, v13, vcc_lo
	v_add_co_u32 v13, vcc_lo, v4, 1
	s_wait_alu 0xfffd
	v_add_co_ci_u32_e32 v14, vcc_lo, 0, v9, vcc_lo
	s_delay_alu instid0(VALU_DEP_3) | instskip(SKIP_2) | instid1(VALU_DEP_3)
	v_cmp_ne_u32_e32 vcc_lo, 0, v10
	s_wait_alu 0xfffd
	v_cndmask_b32_e32 v10, v13, v11, vcc_lo
	v_cndmask_b32_e32 v8, v14, v12, vcc_lo
	v_cmp_ne_u32_e32 vcc_lo, 0, v7
	s_wait_alu 0xfffd
	s_delay_alu instid0(VALU_DEP_2)
	v_dual_cndmask_b32 v7, v4, v10 :: v_dual_cndmask_b32 v8, v9, v8
.LBB0_4:                                ;   in Loop: Header=BB0_2 Depth=1
	s_wait_alu 0xfffe
	s_and_not1_saveexec_b32 s2, s22
	s_cbranch_execz .LBB0_6
; %bb.5:                                ;   in Loop: Header=BB0_2 Depth=1
	v_cvt_f32_u32_e32 v4, s20
	s_sub_co_i32 s22, 0, s20
	s_delay_alu instid0(VALU_DEP_1) | instskip(NEXT) | instid1(TRANS32_DEP_1)
	v_rcp_iflag_f32_e32 v4, v4
	v_mul_f32_e32 v4, 0x4f7ffffe, v4
	s_delay_alu instid0(VALU_DEP_1) | instskip(SKIP_1) | instid1(VALU_DEP_1)
	v_cvt_u32_f32_e32 v4, v4
	s_wait_alu 0xfffe
	v_mul_lo_u32 v7, s22, v4
	s_delay_alu instid0(VALU_DEP_1) | instskip(NEXT) | instid1(VALU_DEP_1)
	v_mul_hi_u32 v7, v4, v7
	v_add_nc_u32_e32 v4, v4, v7
	s_delay_alu instid0(VALU_DEP_1) | instskip(NEXT) | instid1(VALU_DEP_1)
	v_mul_hi_u32 v4, v5, v4
	v_mul_lo_u32 v7, v4, s20
	v_add_nc_u32_e32 v8, 1, v4
	s_delay_alu instid0(VALU_DEP_2) | instskip(NEXT) | instid1(VALU_DEP_1)
	v_sub_nc_u32_e32 v7, v5, v7
	v_subrev_nc_u32_e32 v9, s20, v7
	v_cmp_le_u32_e32 vcc_lo, s20, v7
	s_wait_alu 0xfffd
	s_delay_alu instid0(VALU_DEP_2) | instskip(NEXT) | instid1(VALU_DEP_1)
	v_dual_cndmask_b32 v7, v7, v9 :: v_dual_cndmask_b32 v4, v4, v8
	v_cmp_le_u32_e32 vcc_lo, s20, v7
	s_delay_alu instid0(VALU_DEP_2) | instskip(SKIP_1) | instid1(VALU_DEP_1)
	v_add_nc_u32_e32 v8, 1, v4
	s_wait_alu 0xfffd
	v_dual_cndmask_b32 v7, v4, v8 :: v_dual_mov_b32 v8, v3
.LBB0_6:                                ;   in Loop: Header=BB0_2 Depth=1
	s_wait_alu 0xfffe
	s_or_b32 exec_lo, exec_lo, s2
	s_load_b64 s[22:23], s[14:15], 0x0
	s_delay_alu instid0(VALU_DEP_1)
	v_mul_lo_u32 v4, v8, s20
	v_mul_lo_u32 v11, v7, s21
	v_mad_co_u64_u32 v[9:10], null, v7, s20, 0
	s_add_nc_u64 s[16:17], s[16:17], 1
	s_add_nc_u64 s[14:15], s[14:15], 8
	s_wait_alu 0xfffe
	v_cmp_ge_u64_e64 s2, s[16:17], s[6:7]
	s_add_nc_u64 s[18:19], s[18:19], 8
	s_delay_alu instid0(VALU_DEP_2) | instskip(NEXT) | instid1(VALU_DEP_3)
	v_add3_u32 v4, v10, v11, v4
	v_sub_co_u32 v5, vcc_lo, v5, v9
	s_wait_alu 0xfffd
	s_delay_alu instid0(VALU_DEP_2) | instskip(SKIP_3) | instid1(VALU_DEP_2)
	v_sub_co_ci_u32_e32 v4, vcc_lo, v6, v4, vcc_lo
	s_and_b32 vcc_lo, exec_lo, s2
	s_wait_kmcnt 0x0
	v_mul_lo_u32 v6, s23, v5
	v_mul_lo_u32 v4, s22, v4
	v_mad_co_u64_u32 v[1:2], null, s22, v5, v[1:2]
	s_delay_alu instid0(VALU_DEP_1)
	v_add3_u32 v2, v6, v2, v4
	s_wait_alu 0xfffe
	s_cbranch_vccnz .LBB0_9
; %bb.7:                                ;   in Loop: Header=BB0_2 Depth=1
	v_dual_mov_b32 v5, v7 :: v_dual_mov_b32 v6, v8
	s_branch .LBB0_2
.LBB0_8:
	v_dual_mov_b32 v8, v6 :: v_dual_mov_b32 v7, v5
.LBB0_9:
	s_lshl_b64 s[2:3], s[6:7], 3
	v_mul_hi_u32 v3, 0x253c826, v0
	s_wait_alu 0xfffe
	s_add_nc_u64 s[2:3], s[12:13], s[2:3]
	s_load_b64 s[0:1], s[0:1], 0x20
	s_load_b64 s[2:3], s[2:3], 0x0
	s_delay_alu instid0(VALU_DEP_1) | instskip(NEXT) | instid1(VALU_DEP_1)
	v_mul_u32_u24_e32 v3, 0x6e, v3
	v_sub_nc_u32_e32 v81, v0, v3
	s_delay_alu instid0(VALU_DEP_1)
	v_add_nc_u32_e32 v87, 0x6e, v81
	v_add_nc_u32_e32 v84, 0xdc, v81
	;; [unrolled: 1-line block ×4, first 2 shown]
	s_wait_kmcnt 0x0
	v_cmp_gt_u64_e32 vcc_lo, s[0:1], v[7:8]
	v_mul_lo_u32 v3, s2, v8
	v_mul_lo_u32 v4, s3, v7
	v_mad_co_u64_u32 v[0:1], null, s2, v7, v[1:2]
	v_cmp_le_u64_e64 s0, s[0:1], v[7:8]
                                        ; implicit-def: $sgpr2
	s_delay_alu instid0(VALU_DEP_2) | instskip(NEXT) | instid1(VALU_DEP_2)
	v_add3_u32 v1, v4, v1, v3
	s_and_saveexec_b32 s1, s0
	s_wait_alu 0xfffe
	s_xor_b32 s0, exec_lo, s1
; %bb.10:
	v_add_nc_u32_e32 v87, 0x6e, v81
	v_add_nc_u32_e32 v84, 0xdc, v81
	;; [unrolled: 1-line block ×4, first 2 shown]
	s_mov_b32 s2, 0
; %bb.11:
	s_wait_alu 0xfffe
	s_or_saveexec_b32 s1, s0
	v_lshlrev_b64_e32 v[74:75], 4, v[0:1]
	v_mov_b32_e32 v80, s2
                                        ; implicit-def: $vgpr60_vgpr61
                                        ; implicit-def: $vgpr56_vgpr57
                                        ; implicit-def: $vgpr44_vgpr45
                                        ; implicit-def: $vgpr32_vgpr33
                                        ; implicit-def: $vgpr48_vgpr49
                                        ; implicit-def: $vgpr36_vgpr37
                                        ; implicit-def: $vgpr52_vgpr53
                                        ; implicit-def: $vgpr40_vgpr41
                                        ; implicit-def: $vgpr28_vgpr29
                                        ; implicit-def: $vgpr24_vgpr25
                                        ; implicit-def: $vgpr4_vgpr5
                                        ; implicit-def: $vgpr8_vgpr9
	s_wait_alu 0xfffe
	s_xor_b32 exec_lo, exec_lo, s1
	s_cbranch_execz .LBB0_15
; %bb.12:
	v_mad_co_u64_u32 v[2:3], null, s8, v81, 0
	v_add_nc_u32_e32 v14, 0x2cb, v81
	v_add_nc_u32_e32 v6, 0x25d, v81
	v_mad_co_u64_u32 v[10:11], null, s8, v87, 0
	v_add_nc_u32_e32 v21, 0x339, v81
	s_delay_alu instid0(VALU_DEP_4) | instskip(NEXT) | instid1(VALU_DEP_4)
	v_mad_co_u64_u32 v[12:13], null, s8, v14, 0
	v_mad_co_u64_u32 v[4:5], null, s8, v6, 0
	v_mov_b32_e32 v0, v3
	s_delay_alu instid0(VALU_DEP_4) | instskip(SKIP_1) | instid1(VALU_DEP_4)
	v_mad_co_u64_u32 v[16:17], null, s8, v21, 0
	s_mov_b32 s2, exec_lo
	v_mov_b32_e32 v7, v13
	s_delay_alu instid0(VALU_DEP_3) | instskip(SKIP_2) | instid1(VALU_DEP_2)
	v_mad_co_u64_u32 v[0:1], null, s9, v81, v[0:1]
	v_mov_b32_e32 v1, v5
                                        ; implicit-def: $vgpr54_vgpr55
                                        ; implicit-def: $vgpr58_vgpr59
	v_add_nc_u32_e32 v32, 0x3a7, v81
	v_mad_co_u64_u32 v[5:6], null, s9, v6, v[1:2]
	s_delay_alu instid0(VALU_DEP_4) | instskip(SKIP_3) | instid1(VALU_DEP_3)
	v_dual_mov_b32 v6, v11 :: v_dual_mov_b32 v3, v0
	v_add_co_u32 v0, s0, s10, v74
	s_wait_alu 0xf1ff
	v_add_co_ci_u32_e64 v1, s0, s11, v75, s0
	v_mad_co_u64_u32 v[8:9], null, s9, v87, v[6:7]
	v_lshlrev_b64_e32 v[2:3], 4, v[2:3]
	v_lshlrev_b64_e32 v[4:5], 4, v[4:5]
	v_mad_co_u64_u32 v[30:31], null, s8, v32, 0
	s_delay_alu instid0(VALU_DEP_4) | instskip(SKIP_3) | instid1(VALU_DEP_4)
	v_mov_b32_e32 v11, v8
	v_mad_co_u64_u32 v[13:14], null, s9, v14, v[7:8]
	v_mad_co_u64_u32 v[14:15], null, s8, v84, 0
	v_add_co_u32 v2, s0, v0, v2
	v_lshlrev_b64_e32 v[10:11], 4, v[10:11]
	s_wait_alu 0xf1ff
	v_add_co_ci_u32_e64 v3, s0, v1, v3, s0
	v_add_co_u32 v4, s0, v0, v4
	v_mad_co_u64_u32 v[18:19], null, s9, v84, v[15:16]
	v_mad_co_u64_u32 v[19:20], null, s8, v85, 0
	v_lshlrev_b64_e32 v[12:13], 4, v[12:13]
	s_wait_alu 0xf1ff
	v_add_co_ci_u32_e64 v5, s0, v1, v5, s0
	v_mov_b32_e32 v15, v17
	v_add_co_u32 v10, s0, v0, v10
	s_wait_alu 0xf1ff
	v_add_co_ci_u32_e64 v11, s0, v1, v11, s0
	v_add_co_u32 v12, s0, v0, v12
	v_mad_co_u64_u32 v[21:22], null, s9, v21, v[15:16]
	v_dual_mov_b32 v15, v18 :: v_dual_mov_b32 v18, v20
	s_wait_alu 0xf1ff
	v_add_co_ci_u32_e64 v13, s0, v1, v13, s0
	s_clause 0x3
	global_load_b128 v[6:9], v[2:3], off
	global_load_b128 v[2:5], v[4:5], off
	;; [unrolled: 1-line block ×4, first 2 shown]
	v_mad_co_u64_u32 v[12:13], null, s9, v85, v[18:19]
	v_mov_b32_e32 v13, v31
	v_mov_b32_e32 v17, v21
	s_delay_alu instid0(VALU_DEP_3) | instskip(SKIP_2) | instid1(VALU_DEP_3)
	v_dual_mov_b32 v20, v12 :: v_dual_add_nc_u32 v21, 0x415, v81
	v_lshlrev_b64_e32 v[10:11], 4, v[14:15]
	v_mad_co_u64_u32 v[14:15], null, s8, v86, 0
	v_lshlrev_b64_e32 v[19:20], 4, v[19:20]
	s_delay_alu instid0(VALU_DEP_3) | instskip(SKIP_1) | instid1(VALU_DEP_4)
	v_add_co_u32 v10, s0, v0, v10
	s_wait_alu 0xf1ff
	v_add_co_ci_u32_e64 v11, s0, v1, v11, s0
	s_delay_alu instid0(VALU_DEP_4) | instskip(SKIP_3) | instid1(VALU_DEP_4)
	v_mad_co_u64_u32 v[31:32], null, s9, v32, v[13:14]
	v_mad_co_u64_u32 v[32:33], null, s8, v21, 0
	v_mov_b32_e32 v13, v15
	v_lshlrev_b64_e32 v[15:16], 4, v[16:17]
	v_lshlrev_b64_e32 v[30:31], 4, v[30:31]
	s_delay_alu instid0(VALU_DEP_3) | instskip(SKIP_1) | instid1(VALU_DEP_4)
	v_mad_co_u64_u32 v[12:13], null, s9, v86, v[13:14]
	v_mov_b32_e32 v13, v33
	v_add_co_u32 v17, s0, v0, v15
	s_wait_alu 0xf1ff
	v_add_co_ci_u32_e64 v18, s0, v1, v16, s0
	s_delay_alu instid0(VALU_DEP_3) | instskip(SKIP_4) | instid1(VALU_DEP_3)
	v_mad_co_u64_u32 v[33:34], null, s9, v21, v[13:14]
	v_mov_b32_e32 v15, v12
	v_add_co_u32 v12, s0, v0, v19
	s_wait_alu 0xf1ff
	v_add_co_ci_u32_e64 v13, s0, v1, v20, s0
	v_lshlrev_b64_e32 v[14:15], 4, v[14:15]
	v_add_co_u32 v19, s0, v0, v30
	s_wait_alu 0xf1ff
	v_add_co_ci_u32_e64 v20, s0, v1, v31, s0
	v_lshlrev_b64_e32 v[30:31], 4, v[32:33]
	s_delay_alu instid0(VALU_DEP_4) | instskip(SKIP_2) | instid1(VALU_DEP_3)
	v_add_co_u32 v14, s0, v0, v14
	s_wait_alu 0xf1ff
	v_add_co_ci_u32_e64 v15, s0, v1, v15, s0
	v_add_co_u32 v42, s0, v0, v30
	s_wait_alu 0xf1ff
	v_add_co_ci_u32_e64 v43, s0, v1, v31, s0
	s_clause 0x5
	global_load_b128 v[38:41], v[10:11], off
	global_load_b128 v[50:53], v[17:18], off
	;; [unrolled: 1-line block ×6, first 2 shown]
	v_cmpx_gt_u32_e32 55, v81
	s_cbranch_execz .LBB0_14
; %bb.13:
	v_add_nc_u32_e32 v14, 0x226, v81
	v_add_nc_u32_e32 v16, 0x483, v81
	s_delay_alu instid0(VALU_DEP_2) | instskip(NEXT) | instid1(VALU_DEP_2)
	v_mad_co_u64_u32 v[10:11], null, s8, v14, 0
	v_mad_co_u64_u32 v[12:13], null, s8, v16, 0
	s_delay_alu instid0(VALU_DEP_1) | instskip(NEXT) | instid1(VALU_DEP_1)
	v_mad_co_u64_u32 v[14:15], null, s9, v14, v[11:12]
	v_mov_b32_e32 v11, v14
	s_delay_alu instid0(VALU_DEP_3) | instskip(NEXT) | instid1(VALU_DEP_2)
	v_mad_co_u64_u32 v[15:16], null, s9, v16, v[13:14]
	v_lshlrev_b64_e32 v[10:11], 4, v[10:11]
	s_delay_alu instid0(VALU_DEP_2) | instskip(NEXT) | instid1(VALU_DEP_2)
	v_mov_b32_e32 v13, v15
	v_add_co_u32 v10, s0, v0, v10
	s_wait_alu 0xf1ff
	s_delay_alu instid0(VALU_DEP_3) | instskip(NEXT) | instid1(VALU_DEP_3)
	v_add_co_ci_u32_e64 v11, s0, v1, v11, s0
	v_lshlrev_b64_e32 v[12:13], 4, v[12:13]
	s_delay_alu instid0(VALU_DEP_1) | instskip(SKIP_1) | instid1(VALU_DEP_2)
	v_add_co_u32 v0, s0, v0, v12
	s_wait_alu 0xf1ff
	v_add_co_ci_u32_e64 v1, s0, v1, v13, s0
	s_clause 0x1
	global_load_b128 v[54:57], v[10:11], off
	global_load_b128 v[58:61], v[0:1], off
.LBB0_14:
	s_wait_alu 0xfffe
	s_or_b32 exec_lo, exec_lo, s2
	v_mov_b32_e32 v80, v81
.LBB0_15:
	s_or_b32 exec_lo, exec_lo, s1
	s_wait_loadcnt 0x8
	v_add_f64_e64 v[14:15], v[6:7], -v[2:3]
	s_wait_loadcnt 0x0
	v_add_f64_e64 v[2:3], v[54:55], -v[58:59]
	v_add_f64_e64 v[18:19], v[22:23], -v[26:27]
	;; [unrolled: 1-line block ×5, first 2 shown]
	v_lshl_add_u32 v11, v81, 4, 0
	v_lshl_add_u32 v10, v87, 4, 0
	;; [unrolled: 1-line block ×4, first 2 shown]
	v_cmp_gt_u32_e64 s1, 55, v81
	v_fma_f64 v[12:13], v[6:7], 2.0, -v[14:15]
	v_fma_f64 v[0:1], v[54:55], 2.0, -v[2:3]
	;; [unrolled: 1-line block ×6, first 2 shown]
	v_add_nc_u32_e32 v6, 0x226, v81
	v_lshl_add_u32 v30, v85, 4, 0
	ds_store_b128 v11, v[12:15]
	ds_store_b128 v10, v[16:19]
	;; [unrolled: 1-line block ×5, first 2 shown]
	v_lshl_add_u32 v26, v6, 4, 0
	s_and_saveexec_b32 s0, s1
	s_cbranch_execz .LBB0_17
; %bb.16:
	ds_store_b128 v26, v[0:3]
.LBB0_17:
	s_wait_alu 0xfffe
	s_or_b32 exec_lo, exec_lo, s0
	v_lshlrev_b32_e32 v6, 3, v81
	v_lshlrev_b32_e32 v31, 3, v87
	global_wb scope:SCOPE_SE
	s_wait_dscnt 0x0
	s_barrier_signal -1
	s_barrier_wait -1
	v_sub_nc_u32_e32 v7, v11, v6
	v_sub_nc_u32_e32 v15, v10, v31
	global_inv scope:SCOPE_SE
	v_sub_nc_u32_e32 v6, 0, v6
	v_cmp_gt_u32_e64 s0, 22, v81
	v_add_nc_u32_e32 v12, 0x800, v7
	v_add_nc_u32_e32 v13, 0x1000, v7
	;; [unrolled: 1-line block ×4, first 2 shown]
	ds_load_2addr_b64 v[20:23], v7 offset1:242
	ds_load_2addr_b64 v[70:73], v12 offset0:96 offset1:228
	ds_load_2addr_b64 v[62:65], v13 offset0:82 offset1:214
	;; [unrolled: 1-line block ×3, first 2 shown]
	ds_load_b64 v[46:47], v15
	ds_load_b64 v[76:77], v7 offset:8624
	v_lshlrev_b32_e32 v51, 3, v84
                                        ; implicit-def: $vgpr14_vgpr15
                                        ; implicit-def: $vgpr18_vgpr19
	s_and_saveexec_b32 s2, s0
	s_cbranch_execz .LBB0_19
; %bb.18:
	v_add_nc_u32_e32 v0, 0xe40, v82
	s_delay_alu instid0(VALU_DEP_2)
	v_sub_nc_u32_e32 v1, v50, v51
	v_add_nc_u32_e32 v2, 0x1d80, v82
	ds_load_2addr_b64 v[16:19], v0 offset0:6 offset1:248
	ds_load_b64 v[0:1], v1
	ds_load_2addr_b64 v[12:15], v2 offset0:2 offset1:244
	s_wait_dscnt 0x2
	v_dual_mov_b32 v2, v16 :: v_dual_mov_b32 v3, v17
.LBB0_19:
	s_wait_alu 0xfffe
	s_or_b32 exec_lo, exec_lo, s2
	v_add_f64_e64 v[54:55], v[8:9], -v[4:5]
	v_add_f64_e64 v[6:7], v[56:57], -v[60:61]
	;; [unrolled: 1-line block ×6, first 2 shown]
	global_wb scope:SCOPE_SE
	s_wait_dscnt 0x0
	s_barrier_signal -1
	s_barrier_wait -1
	global_inv scope:SCOPE_SE
	v_fma_f64 v[52:53], v[8:9], 2.0, -v[54:55]
	v_fma_f64 v[4:5], v[56:57], 2.0, -v[6:7]
	;; [unrolled: 1-line block ×6, first 2 shown]
	v_sub_nc_u32_e32 v8, 0, v31
	ds_store_b128 v11, v[52:55]
	ds_store_b128 v10, v[88:91]
	;; [unrolled: 1-line block ×5, first 2 shown]
	s_and_saveexec_b32 s2, s1
	s_cbranch_execz .LBB0_21
; %bb.20:
	ds_store_b128 v26, v[4:7]
.LBB0_21:
	s_wait_alu 0xfffe
	s_or_b32 exec_lo, exec_lo, s2
	v_add_nc_u32_e32 v16, 0x800, v82
	v_add_nc_u32_e32 v17, 0x1000, v82
	;; [unrolled: 1-line block ×4, first 2 shown]
	global_wb scope:SCOPE_SE
	s_wait_dscnt 0x0
	s_barrier_signal -1
	s_barrier_wait -1
	global_inv scope:SCOPE_SE
	ds_load_2addr_b64 v[8:11], v82 offset1:242
	ds_load_2addr_b64 v[36:39], v16 offset0:96 offset1:228
	ds_load_2addr_b64 v[40:43], v17 offset0:82 offset1:214
	;; [unrolled: 1-line block ×3, first 2 shown]
	ds_load_b64 v[16:17], v83
	ds_load_b64 v[78:79], v82 offset:8624
                                        ; implicit-def: $vgpr26_vgpr27
                                        ; implicit-def: $vgpr30_vgpr31
	s_and_saveexec_b32 s1, s0
	s_cbranch_execz .LBB0_23
; %bb.22:
	v_add_nc_u32_e32 v4, 0xe40, v82
	v_sub_nc_u32_e32 v5, v50, v51
	v_add_nc_u32_e32 v6, 0x1d80, v82
	ds_load_2addr_b64 v[28:31], v4 offset0:6 offset1:248
	ds_load_b64 v[4:5], v5
	ds_load_2addr_b64 v[24:27], v6 offset0:2 offset1:244
	s_wait_dscnt 0x2
	v_dual_mov_b32 v6, v28 :: v_dual_mov_b32 v7, v29
.LBB0_23:
	s_wait_alu 0xfffe
	s_or_b32 exec_lo, exec_lo, s1
	v_and_b32_e32 v88, 1, v81
	s_mov_b32 s2, 0x134454ff
	s_mov_b32 s3, 0xbfee6f0e
	;; [unrolled: 1-line block ×3, first 2 shown]
	s_wait_alu 0xfffe
	s_mov_b32 s6, s2
	v_lshlrev_b32_e32 v28, 6, v88
	s_mov_b32 s12, 0x4755a5e
	s_mov_b32 s13, 0xbfe2cf23
	s_mov_b32 s15, 0x3fe2cf23
	s_mov_b32 s14, s12
	s_clause 0x3
	global_load_b128 v[89:92], v28, s[4:5] offset:16
	global_load_b128 v[93:96], v28, s[4:5]
	global_load_b128 v[97:100], v28, s[4:5] offset:32
	global_load_b128 v[101:104], v28, s[4:5] offset:48
	s_mov_b32 s16, 0x372fe950
	s_mov_b32 s17, 0x3fd3c6ef
	global_wb scope:SCOPE_SE
	s_wait_loadcnt_dscnt 0x0
	s_barrier_signal -1
	s_barrier_wait -1
	global_inv scope:SCOPE_SE
	v_mul_f64_e32 v[28:29], v[38:39], v[91:92]
	v_mul_f64_e32 v[58:59], v[10:11], v[95:96]
	v_mul_f64_e32 v[50:51], v[42:43], v[99:100]
	v_mul_f64_e32 v[52:53], v[34:35], v[103:104]
	v_mul_f64_e32 v[60:61], v[40:41], v[91:92]
	v_mul_f64_e32 v[105:106], v[32:33], v[99:100]
	v_mul_f64_e32 v[44:45], v[36:37], v[95:96]
	v_mul_f64_e32 v[107:108], v[78:79], v[103:104]
	v_mul_f64_e32 v[109:110], v[72:73], v[91:92]
	v_mul_f64_e32 v[113:114], v[64:65], v[99:100]
	v_mul_f64_e32 v[117:118], v[68:69], v[103:104]
	v_mul_f64_e32 v[121:122], v[22:23], v[95:96]
	v_mul_f64_e32 v[111:112], v[70:71], v[95:96]
	v_mul_f64_e32 v[115:116], v[62:63], v[91:92]
	v_mul_f64_e32 v[119:120], v[66:67], v[99:100]
	v_mul_f64_e32 v[123:124], v[76:77], v[103:104]
	v_mul_f64_e32 v[127:128], v[6:7], v[95:96]
	v_mul_f64_e32 v[95:96], v[2:3], v[95:96]
	v_mul_f64_e32 v[129:130], v[30:31], v[91:92]
	v_mul_f64_e32 v[91:92], v[18:19], v[91:92]
	v_mul_f64_e32 v[131:132], v[24:25], v[99:100]
	v_mul_f64_e32 v[99:100], v[12:13], v[99:100]
	v_mul_f64_e32 v[133:134], v[26:27], v[103:104]
	v_mul_f64_e32 v[103:104], v[14:15], v[103:104]
	v_fma_f64 v[48:49], v[72:73], v[89:90], v[28:29]
	v_fma_f64 v[58:59], v[22:23], v[93:94], v[58:59]
	;; [unrolled: 1-line block ×8, first 2 shown]
	v_fma_f64 v[28:29], v[38:39], v[89:90], -v[109:110]
	v_fma_f64 v[22:23], v[34:35], v[101:102], -v[117:118]
	;; [unrolled: 1-line block ×8, first 2 shown]
	v_add_f64_e32 v[72:73], v[20:21], v[58:59]
	v_add_f64_e32 v[42:43], v[48:49], v[54:55]
	;; [unrolled: 1-line block ×3, first 2 shown]
	v_add_f64_e64 v[105:106], v[56:57], -v[54:55]
	v_add_f64_e32 v[32:33], v[50:51], v[52:53]
	v_add_f64_e32 v[76:77], v[46:47], v[44:45]
	;; [unrolled: 1-line block ×3, first 2 shown]
	v_add_f64_e64 v[107:108], v[48:49], -v[58:59]
	v_add_f64_e64 v[109:110], v[54:55], -v[56:57]
	v_add_f64_e64 v[111:112], v[44:45], -v[50:51]
	v_add_f64_e64 v[68:69], v[38:39], -v[22:23]
	v_add_f64_e64 v[70:71], v[28:29], -v[10:11]
	v_add_f64_e64 v[113:114], v[60:61], -v[52:53]
	v_add_f64_e64 v[115:116], v[50:51], -v[44:45]
	v_add_f64_e64 v[78:79], v[36:37], -v[40:41]
	v_add_f64_e64 v[117:118], v[52:53], -v[60:61]
	v_add_f64_e32 v[72:73], v[72:73], v[48:49]
	v_fma_f64 v[42:43], v[42:43], -0.5, v[20:21]
	v_fma_f64 v[20:21], v[62:63], -0.5, v[20:21]
	v_add_f64_e64 v[62:63], v[34:35], -v[66:67]
	v_fma_f64 v[32:33], v[32:33], -0.5, v[46:47]
	v_add_f64_e32 v[76:77], v[76:77], v[50:51]
	v_fma_f64 v[46:47], v[64:65], -0.5, v[46:47]
	v_add_f64_e64 v[64:65], v[58:59], -v[48:49]
	v_add_f64_e32 v[107:108], v[107:108], v[109:110]
	v_add_f64_e32 v[109:110], v[111:112], v[113:114]
	;; [unrolled: 1-line block ×4, first 2 shown]
	v_fma_f64 v[119:120], v[68:69], s[2:3], v[42:43]
	s_wait_alu 0xfffe
	v_fma_f64 v[121:122], v[70:71], s[6:7], v[20:21]
	v_fma_f64 v[20:21], v[70:71], s[2:3], v[20:21]
	;; [unrolled: 1-line block ×7, first 2 shown]
	v_add_f64_e32 v[105:106], v[64:65], v[105:106]
	v_add_f64_e32 v[76:77], v[76:77], v[52:53]
	v_fma_f64 v[64:65], v[12:13], v[97:98], v[131:132]
	v_fma_f64 v[12:13], v[24:25], v[97:98], -v[99:100]
	v_fma_f64 v[113:114], v[70:71], s[12:13], v[119:120]
	v_fma_f64 v[115:116], v[68:69], s[12:13], v[121:122]
	v_fma_f64 v[20:21], v[68:69], s[14:15], v[20:21]
	v_fma_f64 v[70:71], v[70:71], s[14:15], v[42:43]
	v_fma_f64 v[117:118], v[62:63], s[12:13], v[123:124]
	v_fma_f64 v[119:120], v[78:79], s[12:13], v[125:126]
	v_fma_f64 v[78:79], v[78:79], s[14:15], v[46:47]
	v_fma_f64 v[121:122], v[62:63], s[14:15], v[32:33]
	v_fma_f64 v[46:47], v[2:3], v[93:94], v[127:128]
	v_fma_f64 v[42:43], v[6:7], v[93:94], -v[95:96]
	v_fma_f64 v[62:63], v[18:19], v[89:90], v[129:130]
	v_fma_f64 v[32:33], v[30:31], v[89:90], -v[91:92]
	v_fma_f64 v[68:69], v[14:15], v[101:102], v[133:134]
	v_add_f64_e32 v[2:3], v[72:73], v[56:57]
	v_fma_f64 v[14:15], v[26:27], v[101:102], -v[103:104]
	v_add_f64_e32 v[6:7], v[76:77], v[60:61]
	v_lshrrev_b32_e32 v26, 1, v87
	v_lshrrev_b32_e32 v27, 1, v81
	s_delay_alu instid0(VALU_DEP_2) | instskip(NEXT) | instid1(VALU_DEP_2)
	v_mul_lo_u32 v26, v26, 10
	v_mul_u32_u24_e32 v27, 10, v27
	s_delay_alu instid0(VALU_DEP_1) | instskip(NEXT) | instid1(VALU_DEP_3)
	v_or_b32_e32 v27, v27, v88
	v_or_b32_e32 v26, v26, v88
	s_delay_alu instid0(VALU_DEP_1)
	v_lshl_add_u32 v72, v26, 3, 0
	v_fma_f64 v[18:19], v[105:106], s[16:17], v[113:114]
	v_fma_f64 v[30:31], v[107:108], s[16:17], v[115:116]
	;; [unrolled: 1-line block ×8, first 2 shown]
	v_lshrrev_b32_e32 v70, 1, v84
	v_lshl_add_u32 v71, v27, 3, 0
	ds_store_2addr_b64 v71, v[2:3], v[18:19] offset1:2
	ds_store_2addr_b64 v71, v[30:31], v[20:21] offset0:4 offset1:6
	ds_store_b64 v71, v[24:25] offset:64
	ds_store_2addr_b64 v72, v[6:7], v[76:77] offset1:2
	ds_store_2addr_b64 v72, v[89:90], v[78:79] offset0:4 offset1:6
	ds_store_b64 v72, v[91:92] offset:64
	s_and_saveexec_b32 s1, s0
	s_cbranch_execz .LBB0_25
; %bb.24:
	v_add_f64_e32 v[2:3], v[46:47], v[68:69]
	v_add_f64_e32 v[6:7], v[62:63], v[64:65]
	v_add_f64_e64 v[18:19], v[42:43], -v[14:15]
	v_add_f64_e32 v[24:25], v[0:1], v[46:47]
	v_add_f64_e64 v[20:21], v[32:33], -v[12:13]
	v_add_f64_e64 v[26:27], v[64:65], -v[68:69]
	v_add_f64_e64 v[30:31], v[46:47], -v[62:63]
	v_add_f64_e64 v[76:77], v[68:69], -v[64:65]
	v_fma_f64 v[2:3], v[2:3], -0.5, v[0:1]
	v_fma_f64 v[0:1], v[6:7], -0.5, v[0:1]
	v_add_f64_e64 v[6:7], v[62:63], -v[46:47]
	v_add_f64_e32 v[24:25], v[24:25], v[62:63]
	s_delay_alu instid0(VALU_DEP_4) | instskip(NEXT) | instid1(VALU_DEP_4)
	v_fma_f64 v[78:79], v[20:21], s[2:3], v[2:3]
	v_fma_f64 v[89:90], v[18:19], s[2:3], v[0:1]
	;; [unrolled: 1-line block ×4, first 2 shown]
	v_add_f64_e32 v[6:7], v[6:7], v[26:27]
	v_add_f64_e32 v[26:27], v[30:31], v[76:77]
	;; [unrolled: 1-line block ×3, first 2 shown]
	v_fma_f64 v[30:31], v[18:19], s[14:15], v[78:79]
	v_fma_f64 v[76:77], v[20:21], s[12:13], v[89:90]
	;; [unrolled: 1-line block ×4, first 2 shown]
	v_add_f64_e32 v[18:19], v[24:25], v[68:69]
	v_fma_f64 v[20:21], v[6:7], s[16:17], v[30:31]
	v_fma_f64 v[24:25], v[26:27], s[16:17], v[76:77]
	v_fma_f64 v[2:3], v[6:7], s[16:17], v[2:3]
	v_fma_f64 v[0:1], v[26:27], s[16:17], v[0:1]
	v_mul_lo_u32 v6, v70, 10
	s_delay_alu instid0(VALU_DEP_1) | instskip(NEXT) | instid1(VALU_DEP_1)
	v_or_b32_e32 v6, v6, v88
	v_lshl_add_u32 v6, v6, 3, 0
	ds_store_2addr_b64 v6, v[18:19], v[24:25] offset1:2
	ds_store_2addr_b64 v6, v[2:3], v[20:21] offset0:4 offset1:6
	ds_store_b64 v6, v[0:1] offset:64
.LBB0_25:
	s_wait_alu 0xfffe
	s_or_b32 exec_lo, exec_lo, s1
	v_add_f64_e32 v[0:1], v[28:29], v[10:11]
	v_add_f64_e32 v[2:3], v[38:39], v[22:23]
	;; [unrolled: 1-line block ×5, first 2 shown]
	v_add_f64_e64 v[24:25], v[58:59], -v[56:57]
	v_add_f64_e32 v[30:31], v[16:17], v[36:37]
	v_add_f64_e64 v[26:27], v[48:49], -v[54:55]
	v_add_f64_e64 v[44:45], v[44:45], -v[60:61]
	;; [unrolled: 1-line block ×5, first 2 shown]
	global_wb scope:SCOPE_SE
	s_wait_dscnt 0x0
	s_barrier_signal -1
	s_barrier_wait -1
	global_inv scope:SCOPE_SE
	v_fma_f64 v[0:1], v[0:1], -0.5, v[8:9]
	v_fma_f64 v[2:3], v[2:3], -0.5, v[8:9]
	;; [unrolled: 1-line block ×3, first 2 shown]
	v_add_f64_e64 v[8:9], v[50:51], -v[52:53]
	v_fma_f64 v[16:17], v[18:19], -0.5, v[16:17]
	v_add_f64_e64 v[18:19], v[38:39], -v[28:29]
	v_add_f64_e64 v[38:39], v[28:29], -v[38:39]
	v_add_f64_e32 v[20:21], v[20:21], v[28:29]
	v_add_f64_e32 v[28:29], v[30:31], v[34:35]
	v_add_f64_e64 v[50:51], v[10:11], -v[22:23]
	v_add_f64_e64 v[52:53], v[36:37], -v[34:35]
	;; [unrolled: 1-line block ×3, first 2 shown]
	v_fma_f64 v[30:31], v[24:25], s[6:7], v[0:1]
	v_fma_f64 v[0:1], v[24:25], s[2:3], v[0:1]
	;; [unrolled: 1-line block ×8, first 2 shown]
	v_add_f64_e32 v[18:19], v[18:19], v[48:49]
	v_add_f64_e32 v[10:11], v[20:21], v[10:11]
	;; [unrolled: 1-line block ×6, first 2 shown]
	v_lshl_add_u32 v66, v86, 3, 0
	v_lshl_add_u32 v67, v81, 3, 0
	v_fma_f64 v[28:29], v[26:27], s[14:15], v[30:31]
	v_fma_f64 v[0:1], v[26:27], s[12:13], v[0:1]
	;; [unrolled: 1-line block ×8, first 2 shown]
	v_lshl_add_u32 v60, v84, 3, 0
	v_add_f64_e32 v[10:11], v[10:11], v[22:23]
	v_add_f64_e32 v[40:41], v[20:21], v[40:41]
	v_lshl_add_u32 v61, v85, 3, 0
	v_add_nc_u32_e32 v34, 0x1400, v82
	v_add_nc_u32_e32 v35, 0x1800, v82
	v_fma_f64 v[44:45], v[18:19], s[16:17], v[28:29]
	v_fma_f64 v[50:51], v[18:19], s[16:17], v[0:1]
	;; [unrolled: 1-line block ×8, first 2 shown]
	ds_load_b64 v[28:29], v82 offset:8800
	ds_load_b64 v[18:19], v82
	ds_load_b64 v[22:23], v83
	;; [unrolled: 1-line block ×5, first 2 shown]
	ds_load_b64 v[24:25], v67 offset:4400
	ds_load_2addr_b64 v[0:3], v34 offset0:20 offset1:130
	ds_load_2addr_b64 v[6:9], v35 offset0:112 offset1:222
	global_wb scope:SCOPE_SE
	s_wait_dscnt 0x0
	s_barrier_signal -1
	s_barrier_wait -1
	global_inv scope:SCOPE_SE
	ds_store_2addr_b64 v71, v[10:11], v[44:45] offset1:2
	ds_store_2addr_b64 v71, v[52:53], v[38:39] offset0:4 offset1:6
	ds_store_b64 v71, v[50:51] offset:64
	ds_store_2addr_b64 v72, v[40:41], v[54:55] offset1:2
	ds_store_2addr_b64 v72, v[56:57], v[16:17] offset0:4 offset1:6
	ds_store_b64 v72, v[36:37] offset:64
	s_and_saveexec_b32 s1, s0
	s_cbranch_execz .LBB0_27
; %bb.26:
	v_add_f64_e32 v[10:11], v[32:33], v[12:13]
	v_add_f64_e32 v[16:17], v[42:43], v[14:15]
	;; [unrolled: 1-line block ×3, first 2 shown]
	v_add_f64_e64 v[38:39], v[46:47], -v[68:69]
	v_add_f64_e64 v[40:41], v[62:63], -v[64:65]
	s_mov_b32 s2, 0x134454ff
	s_mov_b32 s3, 0x3fee6f0e
	s_mov_b32 s7, 0xbfee6f0e
	s_wait_alu 0xfffe
	s_mov_b32 s6, s2
	v_add_f64_e64 v[44:45], v[14:15], -v[12:13]
	v_add_f64_e64 v[46:47], v[12:13], -v[14:15]
	v_fma_f64 v[10:11], v[10:11], -0.5, v[4:5]
	v_fma_f64 v[4:5], v[16:17], -0.5, v[4:5]
	v_add_f64_e64 v[16:17], v[42:43], -v[32:33]
	v_add_f64_e64 v[42:43], v[32:33], -v[42:43]
	v_add_f64_e32 v[32:33], v[36:37], v[32:33]
	v_fma_f64 v[36:37], v[38:39], s[2:3], v[10:11]
	s_wait_alu 0xfffe
	v_fma_f64 v[48:49], v[40:41], s[6:7], v[4:5]
	v_fma_f64 v[4:5], v[40:41], s[2:3], v[4:5]
	v_fma_f64 v[10:11], v[38:39], s[6:7], v[10:11]
	s_mov_b32 s2, 0x4755a5e
	s_mov_b32 s3, 0x3fe2cf23
	;; [unrolled: 1-line block ×3, first 2 shown]
	s_wait_alu 0xfffe
	s_mov_b32 s6, s2
	v_add_f64_e32 v[16:17], v[16:17], v[44:45]
	v_add_f64_e32 v[12:13], v[32:33], v[12:13]
	;; [unrolled: 1-line block ×3, first 2 shown]
	v_fma_f64 v[32:33], v[40:41], s[2:3], v[36:37]
	v_fma_f64 v[36:37], v[38:39], s[2:3], v[48:49]
	s_wait_alu 0xfffe
	v_fma_f64 v[4:5], v[38:39], s[6:7], v[4:5]
	v_fma_f64 v[10:11], v[40:41], s[6:7], v[10:11]
	s_mov_b32 s2, 0x372fe950
	s_mov_b32 s3, 0x3fd3c6ef
	v_add_f64_e32 v[12:13], v[12:13], v[14:15]
	s_wait_alu 0xfffe
	v_fma_f64 v[14:15], v[16:17], s[2:3], v[32:33]
	v_fma_f64 v[32:33], v[42:43], s[2:3], v[36:37]
	v_fma_f64 v[4:5], v[42:43], s[2:3], v[4:5]
	v_fma_f64 v[10:11], v[16:17], s[2:3], v[10:11]
	v_mul_lo_u32 v16, v70, 10
	s_delay_alu instid0(VALU_DEP_1) | instskip(NEXT) | instid1(VALU_DEP_1)
	v_or_b32_e32 v16, v16, v88
	v_lshl_add_u32 v16, v16, 3, 0
	ds_store_2addr_b64 v16, v[12:13], v[14:15] offset1:2
	ds_store_2addr_b64 v16, v[32:33], v[4:5] offset0:4 offset1:6
	ds_store_b64 v16, v[10:11] offset:64
.LBB0_27:
	s_wait_alu 0xfffe
	s_or_b32 exec_lo, exec_lo, s1
	v_and_b32_e32 v4, 0xff, v81
	global_wb scope:SCOPE_SE
	s_wait_dscnt 0x0
	s_barrier_signal -1
	s_barrier_wait -1
	global_inv scope:SCOPE_SE
	v_mul_lo_u16 v4, 0xcd, v4
	s_mov_b32 s18, 0xf8bb580b
	s_mov_b32 s0, 0x8764f0ba
	;; [unrolled: 1-line block ×4, first 2 shown]
	v_lshrrev_b16 v32, 11, v4
	s_mov_b32 s19, 0xbfe14ced
	s_mov_b32 s1, 0x3feaeb8c
	;; [unrolled: 1-line block ×4, first 2 shown]
	v_mul_lo_u16 v4, v32, 10
	s_mov_b32 s26, 0xbb3a28a1
	s_mov_b32 s24, 0xfd768dbf
	s_mov_b32 s27, 0xbfe82f19
	s_mov_b32 s25, 0xbfd207e7
	v_sub_nc_u16 v4, v81, v4
	s_mov_b32 s2, 0xd9c712b6
	s_mov_b32 s16, 0x640f44db
	;; [unrolled: 1-line block ×4, first 2 shown]
	v_and_b32_e32 v33, 0xff, v4
	s_mov_b32 s14, 0x7f775887
	s_mov_b32 s12, 0x9bcd5057
	;; [unrolled: 1-line block ×4, first 2 shown]
	v_mul_u32_u24_e32 v4, 10, v33
	s_mov_b32 s7, 0x3fe14ced
	s_mov_b32 s35, 0x3fd207e7
	s_mov_b32 s6, s18
	s_wait_alu 0xfffe
	s_mov_b32 s34, s24
	v_lshlrev_b32_e32 v4, 4, v4
	s_mov_b32 s29, 0x3fefac9e
	s_mov_b32 s28, s20
	;; [unrolled: 1-line block ×4, first 2 shown]
	s_clause 0x9
	global_load_b128 v[36:39], v4, s[4:5] offset:128
	global_load_b128 v[40:43], v4, s[4:5] offset:144
	;; [unrolled: 1-line block ×10, first 2 shown]
	ds_load_b64 v[4:5], v83
	ds_load_b64 v[88:89], v60
	;; [unrolled: 1-line block ×4, first 2 shown]
	ds_load_b64 v[94:95], v67 offset:4400
	ds_load_b64 v[100:101], v82 offset:8800
	ds_load_2addr_b64 v[76:79], v35 offset0:112 offset1:222
	ds_load_2addr_b64 v[84:87], v34 offset0:20 offset1:130
	s_mov_b32 s37, 0x3fe82f19
	s_mov_b32 s36, s26
	s_wait_loadcnt_dscnt 0x907
	v_mul_f64_e32 v[72:73], v[4:5], v[38:39]
	v_mul_f64_e32 v[38:39], v[22:23], v[38:39]
	s_wait_loadcnt_dscnt 0x806
	v_mul_f64_e32 v[96:97], v[88:89], v[42:43]
	v_mul_f64_e32 v[42:43], v[20:21], v[42:43]
	s_wait_loadcnt 0x6
	v_mul_f64_e32 v[102:103], v[8:9], v[50:51]
	v_mul_f64_e32 v[98:99], v[28:29], v[46:47]
	s_wait_loadcnt 0x4
	v_mul_f64_e32 v[104:105], v[6:7], v[58:59]
	s_wait_dscnt 0x2
	v_mul_f64_e32 v[46:47], v[100:101], v[46:47]
	s_wait_dscnt 0x1
	v_mul_f64_e32 v[58:59], v[76:77], v[58:59]
	v_mul_f64_e32 v[50:51], v[78:79], v[50:51]
	s_wait_loadcnt_dscnt 0x0
	v_mul_f64_e32 v[114:115], v[84:85], v[16:17]
	v_mul_f64_e32 v[118:119], v[0:1], v[16:17]
	;; [unrolled: 1-line block ×8, first 2 shown]
	v_fma_f64 v[72:73], v[22:23], v[36:37], v[72:73]
	v_fma_f64 v[36:37], v[4:5], v[36:37], -v[38:39]
	v_mul_f64_e32 v[38:39], v[30:31], v[54:55]
	v_mul_f64_e32 v[54:55], v[90:91], v[54:55]
	v_fma_f64 v[96:97], v[20:21], v[40:41], v[96:97]
	ds_load_b64 v[22:23], v82
	v_fma_f64 v[40:41], v[88:89], v[40:41], -v[42:43]
	v_fma_f64 v[16:17], v[78:79], v[48:49], -v[102:103]
	;; [unrolled: 1-line block ×3, first 2 shown]
	v_fma_f64 v[12:13], v[28:29], v[44:45], v[46:47]
	v_fma_f64 v[6:7], v[6:7], v[56:57], v[58:59]
	v_fma_f64 v[20:21], v[76:77], v[56:57], -v[104:105]
	v_fma_f64 v[8:9], v[8:9], v[48:49], v[50:51]
	v_fma_f64 v[48:49], v[0:1], v[14:15], v[114:115]
	v_fma_f64 v[0:1], v[84:85], v[14:15], -v[118:119]
	;; [unrolled: 3-line block ×3, first 2 shown]
	v_fma_f64 v[2:3], v[2:3], v[68:69], v[110:111]
	v_fma_f64 v[28:29], v[92:93], v[62:63], -v[64:65]
	v_fma_f64 v[10:11], v[94:95], v[10:11], -v[116:117]
	global_wb scope:SCOPE_SE
	s_wait_dscnt 0x0
	s_barrier_signal -1
	s_barrier_wait -1
	global_inv scope:SCOPE_SE
	v_add_f64_e32 v[112:113], v[18:19], v[72:73]
	v_add_f64_e32 v[42:43], v[22:23], v[36:37]
	v_fma_f64 v[38:39], v[90:91], v[52:53], -v[38:39]
	v_fma_f64 v[30:31], v[30:31], v[52:53], v[54:55]
	v_add_f64_e64 v[50:51], v[40:41], -v[16:17]
	v_add_f64_e32 v[52:53], v[40:41], v[16:17]
	v_add_f64_e64 v[14:15], v[36:37], -v[4:5]
	v_add_f64_e32 v[36:37], v[36:37], v[4:5]
	v_add_f64_e32 v[54:55], v[72:73], v[12:13]
	v_add_f64_e64 v[56:57], v[72:73], -v[12:13]
	v_add_f64_e32 v[58:59], v[96:97], v[8:9]
	v_add_f64_e64 v[62:63], v[96:97], -v[8:9]
	v_add_f64_e64 v[78:79], v[26:27], -v[48:49]
	v_add_f64_e32 v[76:77], v[44:45], v[2:3]
	v_add_f64_e64 v[72:73], v[28:29], -v[24:25]
	v_add_f64_e32 v[84:85], v[28:29], v[24:25]
	v_add_f64_e64 v[86:87], v[10:11], -v[0:1]
	v_add_f64_e32 v[88:89], v[10:11], v[0:1]
	v_add_f64_e64 v[90:91], v[44:45], -v[2:3]
	v_add_f64_e32 v[46:47], v[112:113], v[96:97]
	v_add_f64_e32 v[40:41], v[42:43], v[40:41]
	v_add_f64_e64 v[42:43], v[38:39], -v[20:21]
	v_add_f64_e32 v[68:69], v[30:31], v[6:7]
	v_add_f64_e64 v[70:71], v[30:31], -v[6:7]
	v_add_f64_e32 v[64:65], v[38:39], v[20:21]
	v_mul_f64_e32 v[108:109], s[22:23], v[50:51]
	v_mul_f64_e32 v[110:111], s[26:27], v[50:51]
	;; [unrolled: 1-line block ×13, first 2 shown]
	s_wait_alu 0xfffe
	v_mul_f64_e32 v[114:115], s[28:29], v[50:51]
	v_mul_f64_e32 v[50:51], s[6:7], v[50:51]
	;; [unrolled: 1-line block ×18, first 2 shown]
	v_add_f64_e32 v[30:31], v[46:47], v[30:31]
	v_add_f64_e32 v[38:39], v[40:41], v[38:39]
	;; [unrolled: 1-line block ×3, first 2 shown]
	v_mul_f64_e32 v[40:41], s[14:15], v[52:53]
	v_mul_f64_e32 v[52:53], s[0:1], v[52:53]
	v_mul_f64_e32 v[122:123], s[20:21], v[42:43]
	v_mul_f64_e32 v[124:125], s[34:35], v[42:43]
	v_mul_f64_e32 v[126:127], s[30:31], v[42:43]
	v_fma_f64 v[182:183], v[58:59], s[14:15], v[110:111]
	v_fma_f64 v[168:169], v[54:55], s[0:1], v[92:93]
	;; [unrolled: 1-line block ×3, first 2 shown]
	v_fma_f64 v[110:111], v[58:59], s[14:15], -v[110:111]
	v_fma_f64 v[174:175], v[54:55], s[16:17], v[100:101]
	v_fma_f64 v[178:179], v[54:55], s[14:15], v[104:105]
	;; [unrolled: 1-line block ×3, first 2 shown]
	v_fma_f64 v[104:105], v[54:55], s[14:15], -v[104:105]
	v_fma_f64 v[14:15], v[54:55], s[12:13], -v[14:15]
	v_fma_f64 v[172:173], v[56:57], s[30:31], v[98:99]
	v_fma_f64 v[98:99], v[56:57], s[22:23], v[98:99]
	;; [unrolled: 1-line block ×4, first 2 shown]
	v_mul_f64_e32 v[128:129], s[18:19], v[42:43]
	v_mul_f64_e32 v[42:43], s[26:27], v[42:43]
	v_fma_f64 v[186:187], v[58:59], s[16:17], v[114:115]
	v_fma_f64 v[188:189], v[58:59], s[0:1], v[50:51]
	v_fma_f64 v[114:115], v[58:59], s[16:17], -v[114:115]
	v_fma_f64 v[50:51], v[58:59], s[0:1], -v[50:51]
	;; [unrolled: 1-line block ×3, first 2 shown]
	v_mul_f64_e32 v[130:131], s[16:17], v[64:65]
	v_mul_f64_e32 v[132:133], s[12:13], v[64:65]
	;; [unrolled: 1-line block ×3, first 2 shown]
	v_fma_f64 v[192:193], v[62:63], s[24:25], v[118:119]
	v_mul_f64_e32 v[136:137], s[0:1], v[64:65]
	v_mul_f64_e32 v[64:65], s[14:15], v[64:65]
	v_fma_f64 v[194:195], v[62:63], s[20:21], v[120:121]
	v_fma_f64 v[120:121], v[62:63], s[28:29], v[120:121]
	;; [unrolled: 1-line block ×3, first 2 shown]
	v_mul_f64_e32 v[160:161], s[12:13], v[88:89]
	v_add_f64_e32 v[30:31], v[30:31], v[44:45]
	v_add_f64_e32 v[28:29], v[38:39], v[28:29]
	v_fma_f64 v[38:39], v[54:55], s[0:1], -v[92:93]
	v_fma_f64 v[92:93], v[56:57], s[18:19], v[94:95]
	v_fma_f64 v[94:95], v[54:55], s[2:3], v[96:97]
	v_fma_f64 v[96:97], v[54:55], s[2:3], -v[96:97]
	v_fma_f64 v[54:55], v[54:55], s[16:17], -v[100:101]
	v_fma_f64 v[100:101], v[56:57], s[20:21], v[102:103]
	v_fma_f64 v[102:103], v[56:57], s[26:27], v[106:107]
	v_add_f64_e32 v[168:169], v[18:19], v[168:169]
	v_add_f64_e32 v[170:171], v[22:23], v[170:171]
	v_fma_f64 v[190:191], v[62:63], s[36:37], v[40:41]
	v_add_f64_e32 v[174:175], v[18:19], v[174:175]
	v_add_f64_e32 v[178:179], v[18:19], v[178:179]
	;; [unrolled: 1-line block ×5, first 2 shown]
	v_fma_f64 v[40:41], v[62:63], s[26:27], v[40:41]
	v_add_f64_e32 v[172:173], v[22:23], v[172:173]
	v_add_f64_e32 v[98:99], v[22:23], v[98:99]
	;; [unrolled: 1-line block ×3, first 2 shown]
	v_mul_f64_e32 v[44:45], s[26:27], v[72:73]
	v_mul_f64_e32 v[72:73], s[30:31], v[72:73]
	v_fma_f64 v[196:197], v[68:69], s[0:1], v[128:129]
	v_fma_f64 v[198:199], v[68:69], s[14:15], v[42:43]
	v_fma_f64 v[128:129], v[68:69], s[0:1], -v[128:129]
	v_fma_f64 v[42:43], v[68:69], s[14:15], -v[42:43]
	v_mul_f64_e32 v[162:163], s[0:1], v[88:89]
	v_mul_f64_e32 v[164:165], s[14:15], v[88:89]
	v_fma_f64 v[200:201], v[70:71], s[24:25], v[132:133]
	v_fma_f64 v[132:133], v[70:71], s[34:35], v[132:133]
	;; [unrolled: 1-line block ×6, first 2 shown]
	v_mul_f64_e32 v[166:167], s[2:3], v[88:89]
	v_mul_f64_e32 v[88:89], s[16:17], v[88:89]
	v_add_f64_e32 v[26:27], v[30:31], v[26:27]
	v_add_f64_e32 v[10:11], v[28:29], v[10:11]
	v_fma_f64 v[30:31], v[56:57], s[36:37], v[106:107]
	v_fma_f64 v[106:107], v[56:57], s[34:35], v[36:37]
	;; [unrolled: 1-line block ×4, first 2 shown]
	v_add_f64_e32 v[94:95], v[18:19], v[94:95]
	v_add_f64_e32 v[96:97], v[18:19], v[96:97]
	;; [unrolled: 1-line block ×3, first 2 shown]
	v_fma_f64 v[108:109], v[58:59], s[2:3], -v[108:109]
	v_add_f64_e32 v[18:19], v[18:19], v[38:39]
	v_fma_f64 v[58:59], v[62:63], s[30:31], v[116:117]
	v_fma_f64 v[116:117], v[62:63], s[22:23], v[116:117]
	v_add_f64_e32 v[92:93], v[22:23], v[92:93]
	v_fma_f64 v[28:29], v[62:63], s[18:19], v[52:53]
	v_fma_f64 v[52:53], v[62:63], s[6:7], v[52:53]
	;; [unrolled: 1-line block ×4, first 2 shown]
	v_add_f64_e32 v[104:105], v[114:115], v[104:105]
	v_add_f64_e32 v[14:15], v[50:51], v[14:15]
	v_fma_f64 v[122:123], v[68:69], s[16:17], -v[122:123]
	v_add_f64_e32 v[40:41], v[40:41], v[98:99]
	v_add_f64_e32 v[98:99], v[192:193], v[176:177]
	v_fma_f64 v[114:115], v[76:77], s[0:1], -v[140:141]
	v_add_f64_e32 v[26:27], v[26:27], v[48:49]
	v_add_f64_e32 v[0:1], v[10:11], v[0:1]
	;; [unrolled: 1-line block ×7, first 2 shown]
	v_fma_f64 v[48:49], v[68:69], s[12:13], -v[124:125]
	v_fma_f64 v[124:125], v[68:69], s[2:3], v[126:127]
	v_add_f64_e32 v[56:57], v[56:57], v[168:169]
	v_add_f64_e32 v[94:95], v[182:183], v[94:95]
	;; [unrolled: 1-line block ×6, first 2 shown]
	v_fma_f64 v[126:127], v[68:69], s[2:3], -v[126:127]
	v_add_f64_e32 v[50:51], v[112:113], v[54:55]
	v_add_f64_e32 v[18:19], v[108:109], v[18:19]
	v_fma_f64 v[68:69], v[70:71], s[28:29], v[130:131]
	v_add_f64_e32 v[58:59], v[58:59], v[170:171]
	v_fma_f64 v[130:131], v[70:71], s[20:21], v[130:131]
	v_add_f64_e32 v[92:93], v[116:117], v[92:93]
	v_add_f64_e32 v[116:117], v[190:191], v[172:173]
	v_fma_f64 v[54:55], v[70:71], s[26:27], v[64:65]
	v_fma_f64 v[108:109], v[76:77], s[16:17], -v[138:139]
	v_fma_f64 v[112:113], v[76:77], s[0:1], v[140:141]
	v_fma_f64 v[140:141], v[76:77], s[12:13], -v[142:143]
	v_add_f64_e32 v[14:15], v[42:43], v[14:15]
	v_fma_f64 v[168:169], v[90:91], s[20:21], v[146:147]
	v_fma_f64 v[146:147], v[90:91], s[28:29], v[146:147]
	v_add_f64_e32 v[40:41], v[132:133], v[40:41]
	v_add_f64_e32 v[2:3], v[26:27], v[2:3]
	;; [unrolled: 1-line block ×3, first 2 shown]
	v_fma_f64 v[26:27], v[70:71], s[36:37], v[64:65]
	v_add_f64_e32 v[30:31], v[194:195], v[30:31]
	v_add_f64_e32 v[24:25], v[28:29], v[102:103]
	;; [unrolled: 1-line block ×5, first 2 shown]
	v_fma_f64 v[64:65], v[76:77], s[14:15], v[44:45]
	v_fma_f64 v[70:71], v[76:77], s[16:17], v[138:139]
	v_add_f64_e32 v[36:37], v[62:63], v[56:57]
	v_add_f64_e32 v[38:39], v[38:39], v[94:95]
	;; [unrolled: 1-line block ×4, first 2 shown]
	v_fma_f64 v[138:139], v[76:77], s[12:13], v[142:143]
	v_fma_f64 v[142:143], v[76:77], s[2:3], v[72:73]
	v_add_f64_e32 v[56:57], v[196:197], v[106:107]
	v_add_f64_e32 v[94:95], v[198:199], v[110:111]
	v_fma_f64 v[72:73], v[76:77], s[2:3], -v[72:73]
	v_add_f64_e32 v[62:63], v[128:129], v[104:105]
	v_add_f64_e32 v[42:43], v[126:127], v[50:51]
	v_fma_f64 v[44:45], v[76:77], s[14:15], -v[44:45]
	v_add_f64_e32 v[18:19], v[122:123], v[18:19]
	v_fma_f64 v[76:77], v[90:91], s[36:37], v[144:145]
	v_add_f64_e32 v[58:59], v[68:69], v[58:59]
	v_fma_f64 v[144:145], v[90:91], s[26:27], v[144:145]
	v_fma_f64 v[50:51], v[90:91], s[18:19], v[148:149]
	v_fma_f64 v[96:97], v[90:91], s[34:35], v[150:151]
	v_fma_f64 v[100:101], v[90:91], s[24:25], v[150:151]
	v_fma_f64 v[102:103], v[90:91], s[22:23], v[84:85]
	v_fma_f64 v[84:85], v[90:91], s[30:31], v[84:85]
	v_fma_f64 v[104:105], v[46:47], s[12:13], -v[152:153]
	v_fma_f64 v[106:107], v[46:47], s[0:1], v[154:155]
	v_fma_f64 v[110:111], v[46:47], s[0:1], -v[154:155]
	v_fma_f64 v[118:119], v[46:47], s[14:15], v[156:157]
	;; [unrolled: 2-line block ×3, first 2 shown]
	v_fma_f64 v[124:125], v[46:47], s[2:3], -v[158:159]
	v_add_f64_e32 v[2:3], v[2:3], v[6:7]
	v_add_f64_e32 v[0:1], v[0:1], v[20:21]
	v_fma_f64 v[6:7], v[90:91], s[6:7], v[148:149]
	v_fma_f64 v[90:91], v[46:47], s[12:13], v[152:153]
	;; [unrolled: 1-line block ×3, first 2 shown]
	v_fma_f64 v[46:47], v[46:47], s[16:17], -v[86:87]
	v_add_f64_e32 v[68:69], v[130:131], v[92:93]
	v_add_f64_e32 v[86:87], v[200:201], v[116:117]
	;; [unrolled: 1-line block ×19, first 2 shown]
	v_fma_f64 v[56:57], v[78:79], s[18:19], v[162:163]
	v_fma_f64 v[62:63], v[78:79], s[6:7], v[162:163]
	;; [unrolled: 1-line block ×3, first 2 shown]
	v_add_f64_e32 v[40:41], v[146:147], v[40:41]
	v_fma_f64 v[72:73], v[78:79], s[22:23], v[166:167]
	v_fma_f64 v[98:99], v[78:79], s[28:29], v[88:89]
	;; [unrolled: 1-line block ×5, first 2 shown]
	v_add_f64_e32 v[2:3], v[2:3], v[8:9]
	v_fma_f64 v[8:9], v[78:79], s[34:35], v[160:161]
	v_add_f64_e32 v[0:1], v[0:1], v[16:17]
	v_fma_f64 v[78:79], v[78:79], s[20:21], v[88:89]
	v_add_f64_e32 v[68:69], v[144:145], v[68:69]
	v_add_f64_e32 v[76:77], v[168:169], v[86:87]
	;; [unrolled: 1-line block ×19, first 2 shown]
	v_and_b32_e32 v12, 0xffff, v32
	v_lshlrev_b32_e32 v13, 3, v33
	v_add_f64_e32 v[8:9], v[8:9], v[58:59]
	v_add_f64_e32 v[46:47], v[0:1], v[4:5]
	;; [unrolled: 1-line block ×3, first 2 shown]
	v_mul_u32_u24_e32 v12, 0x370, v12
	v_add_f64_e32 v[44:45], v[44:45], v[68:69]
	v_add_f64_e32 v[40:41], v[64:65], v[6:7]
	v_add_f64_e32 v[30:31], v[72:73], v[30:31]
	v_add_f64_e32 v[16:17], v[98:99], v[16:17]
	v_add3_u32 v84, 0, v12, v13
	v_add_f64_e32 v[12:13], v[56:57], v[76:77]
	v_add_f64_e32 v[10:11], v[94:95], v[10:11]
	;; [unrolled: 1-line block ×4, first 2 shown]
	ds_store_2addr_b64 v84, v[26:27], v[36:37] offset0:20 offset1:30
	ds_store_2addr_b64 v84, v[38:39], v[50:51] offset0:40 offset1:50
	;; [unrolled: 1-line block ×4, first 2 shown]
	ds_store_b64 v84, v[18:19] offset:800
	ds_store_2addr_b64 v84, v[2:3], v[24:25] offset1:10
	global_wb scope:SCOPE_SE
	s_wait_dscnt 0x0
	s_barrier_signal -1
	s_barrier_wait -1
	global_inv scope:SCOPE_SE
	ds_load_b64 v[54:55], v82 offset:8800
	ds_load_b64 v[48:49], v82
	ds_load_b64 v[62:63], v83
	;; [unrolled: 1-line block ×5, first 2 shown]
	ds_load_b64 v[50:51], v67 offset:4400
	ds_load_2addr_b64 v[0:3], v34 offset0:20 offset1:130
	ds_load_2addr_b64 v[4:7], v35 offset0:112 offset1:222
	global_wb scope:SCOPE_SE
	s_wait_dscnt 0x0
	s_barrier_signal -1
	s_barrier_wait -1
	global_inv scope:SCOPE_SE
	ds_store_2addr_b64 v84, v[46:47], v[8:9] offset1:10
	ds_store_2addr_b64 v84, v[12:13], v[40:41] offset0:20 offset1:30
	ds_store_2addr_b64 v84, v[30:31], v[16:17] offset0:40 offset1:50
	;; [unrolled: 1-line block ×4, first 2 shown]
	ds_store_b64 v84, v[44:45] offset:800
	global_wb scope:SCOPE_SE
	s_wait_dscnt 0x0
	s_barrier_signal -1
	s_barrier_wait -1
	global_inv scope:SCOPE_SE
	s_and_saveexec_b32 s33, vcc_lo
	s_cbranch_execz .LBB0_29
; %bb.28:
	v_mul_u32_u24_e32 v8, 10, v81
	v_mad_co_u64_u32 v[94:95], null, s8, v80, 0
	v_add_nc_u32_e32 v132, 0x370, v80
	v_add_nc_u32_e32 v127, 0x14a, v80
	s_delay_alu instid0(VALU_DEP_4)
	v_lshlrev_b32_e32 v28, 4, v8
	v_add_nc_u32_e32 v129, 0x226, v80
	v_add_nc_u32_e32 v134, 0x44c, v80
	v_mad_co_u64_u32 v[106:107], null, s8, v132, 0
	s_clause 0x9
	global_load_b128 v[44:47], v28, s[4:5] offset:1728
	global_load_b128 v[24:27], v28, s[4:5] offset:1744
	;; [unrolled: 1-line block ×10, first 2 shown]
	v_add_nc_u32_e32 v128, 0x1b8, v80
	v_mad_co_u64_u32 v[96:97], null, s8, v127, 0
	v_add_nc_u32_e32 v65, 0x1800, v82
	v_mad_co_u64_u32 v[100:101], null, s8, v129, 0
	s_delay_alu instid0(VALU_DEP_4)
	v_mad_co_u64_u32 v[98:99], null, s8, v128, 0
	v_add_nc_u32_e32 v64, 0x1400, v82
	ds_load_b64 v[78:79], v67 offset:4400
	ds_load_b64 v[84:85], v66
	ds_load_b64 v[86:87], v61
	ds_load_b64 v[88:89], v60
	ds_load_b64 v[90:91], v83
	ds_load_b64 v[60:61], v82
	ds_load_b64 v[81:82], v82 offset:8800
	v_mad_co_u64_u32 v[114:115], null, s8, v134, 0
	v_add_nc_u32_e32 v130, 0x294, v80
	v_dual_mov_b32 v83, v95 :: v_dual_add_nc_u32 v118, 0x6e, v80
	v_mov_b32_e32 v95, v101
	v_add_nc_u32_e32 v131, 0x302, v80
	v_add_nc_u32_e32 v133, 0x3de, v80
	v_mov_b32_e32 v101, v115
	v_mad_co_u64_u32 v[102:103], null, s8, v130, 0
	v_add_nc_u32_e32 v126, 0xdc, v80
	s_wait_dscnt 0x5
	v_mad_co_u64_u32 v[116:117], null, s9, v80, v[83:84]
	s_delay_alu instid0(VALU_DEP_3)
	v_dual_mov_b32 v80, v97 :: v_dual_mov_b32 v97, v103
	v_mov_b32_e32 v83, v99
	ds_load_2addr_b64 v[66:69], v64 offset0:20 offset1:130
	ds_load_2addr_b64 v[70:73], v65 offset0:112 offset1:222
	v_mad_co_u64_u32 v[64:65], null, s8, v118, 0
	v_mov_b32_e32 v99, v107
	s_wait_dscnt 0x1
	s_delay_alu instid0(VALU_DEP_2) | instskip(NEXT) | instid1(VALU_DEP_1)
	v_mad_co_u64_u32 v[117:118], null, s9, v118, v[65:66]
	v_mov_b32_e32 v65, v117
	s_wait_loadcnt 0x9
	v_mul_f64_e32 v[76:77], v[62:63], v[46:47]
	v_mul_f64_e32 v[92:93], v[62:63], v[44:45]
	s_wait_loadcnt 0x8
	v_mul_f64_e32 v[104:105], v[58:59], v[26:27]
	v_mul_f64_e32 v[58:59], v[58:59], v[24:25]
	s_wait_loadcnt 0x6
	v_mul_f64_e32 v[108:109], v[4:5], v[16:17]
	s_wait_loadcnt 0x5
	;; [unrolled: 2-line block ×3, first 2 shown]
	v_mul_f64_e32 v[112:113], v[54:55], v[36:37]
	v_mul_f64_e32 v[4:5], v[4:5], v[18:19]
	;; [unrolled: 1-line block ×4, first 2 shown]
	s_wait_loadcnt 0x2
	v_mul_f64_e32 v[120:121], v[0:1], v[8:9]
	v_mul_f64_e32 v[0:1], v[0:1], v[10:11]
	;; [unrolled: 1-line block ×3, first 2 shown]
	s_wait_loadcnt 0x1
	v_mul_f64_e32 v[122:123], v[52:53], v[32:33]
	v_mul_f64_e32 v[52:53], v[52:53], v[34:35]
	;; [unrolled: 1-line block ×3, first 2 shown]
	s_wait_loadcnt 0x0
	v_mul_f64_e32 v[124:125], v[2:3], v[28:29]
	v_mul_f64_e32 v[2:3], v[2:3], v[30:31]
	v_add_co_u32 v62, vcc_lo, s10, v74
	s_wait_alu 0xfffd
	v_add_co_ci_u32_e32 v63, vcc_lo, s11, v75, vcc_lo
	v_mad_co_u64_u32 v[74:75], null, s8, v126, 0
	v_fma_f64 v[44:45], v[90:91], v[44:45], -v[76:77]
	v_fma_f64 v[46:47], v[90:91], v[46:47], v[92:93]
	v_mul_f64_e32 v[92:93], v[56:57], v[20:21]
	v_mul_f64_e32 v[56:57], v[56:57], v[22:23]
	v_fma_f64 v[24:25], v[88:89], v[24:25], -v[104:105]
	v_fma_f64 v[26:27], v[88:89], v[26:27], v[58:59]
	v_fma_f64 v[38:39], v[81:82], v[38:39], v[112:113]
	s_wait_dscnt 0x0
	v_fma_f64 v[4:5], v[70:71], v[16:17], -v[4:5]
	v_fma_f64 v[6:7], v[72:73], v[40:41], -v[6:7]
	;; [unrolled: 1-line block ×3, first 2 shown]
	v_mad_co_u64_u32 v[40:41], null, s9, v128, v[83:84]
	v_fma_f64 v[0:1], v[66:67], v[8:9], -v[0:1]
	v_mad_co_u64_u32 v[76:77], null, s8, v131, 0
	v_mad_co_u64_u32 v[54:55], null, s9, v129, v[95:96]
	v_fma_f64 v[18:19], v[70:71], v[18:19], v[108:109]
	v_fma_f64 v[42:43], v[72:73], v[42:43], v[110:111]
	v_mov_b32_e32 v95, v116
	v_mad_co_u64_u32 v[70:71], null, s9, v132, v[99:100]
	v_fma_f64 v[34:35], v[84:85], v[34:35], v[122:123]
	v_fma_f64 v[32:33], v[84:85], v[32:33], -v[52:53]
	v_fma_f64 v[12:13], v[78:79], v[12:13], -v[50:51]
	v_mov_b32_e32 v99, v40
	v_fma_f64 v[2:3], v[68:69], v[28:29], -v[2:3]
	v_mad_co_u64_u32 v[88:89], null, s9, v126, v[75:76]
	v_mad_co_u64_u32 v[36:37], null, s9, v127, v[80:81]
	;; [unrolled: 1-line block ×3, first 2 shown]
	v_mov_b32_e32 v107, v70
	v_fma_f64 v[14:15], v[78:79], v[14:15], v[118:119]
	v_mov_b32_e32 v75, v88
	v_fma_f64 v[10:11], v[66:67], v[10:11], v[120:121]
	v_fma_f64 v[30:31], v[68:69], v[30:31], v[124:125]
	v_add_f64_e32 v[103:104], v[60:61], v[44:45]
	v_add_f64_e32 v[58:59], v[48:49], v[46:47]
	v_fma_f64 v[22:23], v[86:87], v[22:23], v[92:93]
	v_fma_f64 v[20:21], v[86:87], v[20:21], -v[56:57]
	v_mad_co_u64_u32 v[55:56], null, s9, v130, v[97:98]
	v_mad_co_u64_u32 v[56:57], null, s9, v131, v[77:78]
	v_add_f64_e64 v[40:41], v[46:47], -v[38:39]
	v_add_f64_e64 v[52:53], v[24:25], -v[6:7]
	v_mov_b32_e32 v97, v36
	v_mad_co_u64_u32 v[71:72], null, s9, v133, v[91:92]
	v_mad_co_u64_u32 v[72:73], null, s9, v134, v[101:102]
	v_mov_b32_e32 v77, v56
	v_mov_b32_e32 v101, v54
	v_lshlrev_b64_e32 v[66:67], 4, v[96:97]
	v_add_f64_e64 v[36:37], v[26:27], -v[42:43]
	v_add_f64_e32 v[46:47], v[46:47], v[38:39]
	v_lshlrev_b64_e32 v[80:81], 4, v[94:95]
	v_mov_b32_e32 v91, v71
	v_lshlrev_b64_e32 v[70:71], 4, v[100:101]
	v_mov_b32_e32 v115, v72
	v_add_f64_e64 v[94:95], v[12:13], -v[0:1]
	v_lshlrev_b64_e32 v[68:69], 4, v[98:99]
	v_add_f64_e64 v[92:93], v[32:33], -v[2:3]
	v_add_f64_e32 v[96:97], v[32:33], v[2:3]
	v_lshlrev_b64_e32 v[78:79], 4, v[90:91]
	v_lshlrev_b64_e32 v[84:85], 4, v[114:115]
	v_add_co_u32 v80, vcc_lo, v62, v80
	s_wait_alu 0xfffd
	v_add_co_ci_u32_e32 v81, vcc_lo, v63, v81, vcc_lo
	v_add_f64_e32 v[100:101], v[14:15], v[10:11]
	v_add_f64_e64 v[90:91], v[34:35], -v[30:31]
	v_add_f64_e32 v[82:83], v[24:25], v[103:104]
	v_add_f64_e32 v[8:9], v[26:27], v[58:59]
	v_add_f64_e64 v[57:58], v[44:45], -v[16:17]
	v_add_f64_e64 v[50:51], v[20:21], -v[4:5]
	v_add_f64_e32 v[86:87], v[20:21], v[4:5]
	v_mov_b32_e32 v103, v55
	v_lshlrev_b64_e32 v[54:55], 4, v[64:65]
	v_lshlrev_b64_e32 v[64:65], 4, v[74:75]
	;; [unrolled: 1-line block ×4, first 2 shown]
	v_add_f64_e32 v[44:45], v[44:45], v[16:17]
	v_mul_f64_e32 v[106:107], s[24:25], v[40:41]
	v_mul_f64_e32 v[118:119], s[26:27], v[40:41]
	;; [unrolled: 1-line block ×9, first 2 shown]
	v_add_f64_e32 v[88:89], v[22:23], v[18:19]
	v_add_f64_e32 v[26:27], v[26:27], v[42:43]
	v_add_f64_e64 v[28:29], v[22:23], -v[18:19]
	v_add_f64_e32 v[24:25], v[24:25], v[6:7]
	v_mul_f64_e32 v[104:105], s[6:7], v[36:37]
	v_mul_f64_e32 v[116:117], s[28:29], v[36:37]
	;; [unrolled: 1-line block ×5, first 2 shown]
	v_lshlrev_b64_e32 v[72:73], 4, v[102:103]
	v_add_f64_e32 v[98:99], v[34:35], v[30:31]
	v_mul_f64_e32 v[152:153], s[24:25], v[92:93]
	v_mul_f64_e32 v[160:161], s[18:19], v[92:93]
	v_mul_f64_e32 v[164:165], s[28:29], v[92:93]
	v_mul_f64_e32 v[154:155], s[20:21], v[94:95]
	v_mul_f64_e32 v[166:167], s[30:31], v[94:95]
	v_mul_f64_e32 v[170:171], s[26:27], v[94:95]
	v_mul_f64_e32 v[150:151], s[24:25], v[90:91]
	v_add_f64_e32 v[20:21], v[20:21], v[82:83]
	v_add_f64_e32 v[8:9], v[22:23], v[8:9]
	v_mul_f64_e32 v[112:113], s[24:25], v[57:58]
	v_mul_f64_e32 v[108:109], s[26:27], v[50:51]
	;; [unrolled: 1-line block ×8, first 2 shown]
	v_add_f64_e32 v[22:23], v[12:13], v[0:1]
	v_add_f64_e64 v[82:83], v[14:15], -v[10:11]
	v_fma_f64 v[178:179], v[44:45], s[12:13], v[106:107]
	v_fma_f64 v[106:107], v[44:45], s[12:13], -v[106:107]
	v_fma_f64 v[190:191], v[44:45], s[14:15], v[118:119]
	v_fma_f64 v[200:201], v[44:45], s[0:1], -v[40:41]
	v_fma_f64 v[118:119], v[44:45], s[14:15], -v[118:119]
	;; [unrolled: 1-line block ×4, first 2 shown]
	v_fma_f64 v[130:131], v[44:45], s[16:17], v[130:131]
	v_fma_f64 v[142:143], v[44:45], s[2:3], v[142:143]
	;; [unrolled: 1-line block ×3, first 2 shown]
	v_mul_f64_e32 v[102:103], s[26:27], v[28:29]
	v_mul_f64_e32 v[114:115], s[18:19], v[28:29]
	;; [unrolled: 1-line block ×5, first 2 shown]
	v_fma_f64 v[176:177], v[24:25], s[0:1], v[104:105]
	v_fma_f64 v[104:105], v[24:25], s[0:1], -v[104:105]
	v_fma_f64 v[188:189], v[24:25], s[16:17], v[116:117]
	v_fma_f64 v[116:117], v[24:25], s[16:17], -v[116:117]
	;; [unrolled: 2-line block ×4, first 2 shown]
	v_fma_f64 v[146:147], v[26:27], s[14:15], v[146:147]
	v_mul_f64_e32 v[158:159], s[18:19], v[90:91]
	v_mul_f64_e32 v[162:163], s[28:29], v[90:91]
	v_add_f64_e32 v[20:21], v[32:33], v[20:21]
	v_add_f64_e32 v[8:9], v[34:35], v[8:9]
	v_mul_f64_e32 v[32:33], s[20:21], v[50:51]
	v_mul_f64_e32 v[50:51], s[22:23], v[52:53]
	;; [unrolled: 1-line block ×3, first 2 shown]
	v_fma_f64 v[184:185], v[46:47], s[12:13], -v[112:113]
	v_fma_f64 v[112:113], v[46:47], s[12:13], v[112:113]
	v_fma_f64 v[192:193], v[88:89], s[0:1], -v[120:121]
	v_fma_f64 v[194:195], v[46:47], s[14:15], -v[124:125]
	v_fma_f64 v[206:207], v[46:47], s[2:3], v[148:149]
	v_fma_f64 v[202:203], v[46:47], s[16:17], v[136:137]
	v_fma_f64 v[44:45], v[46:47], s[16:17], -v[136:137]
	v_fma_f64 v[148:149], v[46:47], s[2:3], -v[148:149]
	;; [unrolled: 1-line block ×3, first 2 shown]
	v_add_f64_e32 v[178:179], v[60:61], v[178:179]
	v_add_f64_e32 v[200:201], v[60:61], v[200:201]
	;; [unrolled: 1-line block ×10, first 2 shown]
	v_mul_f64_e32 v[58:59], s[30:31], v[90:91]
	v_mul_f64_e32 v[90:91], s[26:27], v[90:91]
	v_fma_f64 v[60:61], v[88:89], s[12:13], -v[144:145]
	v_mul_f64_e32 v[34:35], s[30:31], v[92:93]
	v_mul_f64_e32 v[92:93], s[26:27], v[92:93]
	v_fma_f64 v[174:175], v[86:87], s[14:15], v[102:103]
	v_fma_f64 v[102:103], v[86:87], s[14:15], -v[102:103]
	v_fma_f64 v[186:187], v[86:87], s[0:1], v[114:115]
	v_fma_f64 v[114:115], v[86:87], s[0:1], -v[114:115]
	v_fma_f64 v[180:181], v[88:89], s[14:15], -v[108:109]
	v_fma_f64 v[108:109], v[88:89], s[14:15], v[108:109]
	v_mul_f64_e32 v[56:57], s[20:21], v[82:83]
	v_mul_f64_e32 v[156:157], s[30:31], v[82:83]
	;; [unrolled: 1-line block ×3, first 2 shown]
	v_add_f64_e32 v[12:13], v[12:13], v[20:21]
	v_add_f64_e32 v[8:9], v[14:15], v[8:9]
	v_fma_f64 v[20:21], v[26:27], s[16:17], -v[122:123]
	v_fma_f64 v[14:15], v[88:89], s[0:1], v[120:121]
	v_fma_f64 v[204:205], v[46:47], s[0:1], v[52:53]
	v_fma_f64 v[120:121], v[26:27], s[16:17], v[122:123]
	v_fma_f64 v[122:123], v[46:47], s[14:15], v[124:125]
	v_fma_f64 v[46:47], v[46:47], s[0:1], -v[52:53]
	v_fma_f64 v[124:125], v[24:25], s[12:13], v[128:129]
	v_fma_f64 v[128:129], v[24:25], s[12:13], -v[128:129]
	v_fma_f64 v[52:53], v[26:27], s[12:13], v[134:135]
	v_fma_f64 v[134:135], v[24:25], s[14:15], v[140:141]
	v_fma_f64 v[140:141], v[24:25], s[14:15], -v[140:141]
	v_fma_f64 v[24:25], v[24:25], s[2:3], -v[36:37]
	;; [unrolled: 1-line block ×3, first 2 shown]
	v_fma_f64 v[26:27], v[26:27], s[2:3], v[50:51]
	v_add_f64_e32 v[50:51], v[48:49], v[184:185]
	v_add_f64_e32 v[112:113], v[48:49], v[112:113]
	;; [unrolled: 1-line block ×7, first 2 shown]
	v_fma_f64 v[184:185], v[86:87], s[2:3], v[126:127]
	v_fma_f64 v[126:127], v[86:87], s[2:3], -v[126:127]
	v_add_f64_e32 v[176:177], v[176:177], v[178:179]
	v_add_f64_e32 v[104:105], v[104:105], v[106:107]
	;; [unrolled: 1-line block ×5, first 2 shown]
	v_mul_f64_e32 v[172:173], s[6:7], v[82:83]
	v_mul_f64_e32 v[82:83], s[24:25], v[82:83]
	v_fma_f64 v[106:107], v[98:99], s[2:3], -v[34:35]
	v_fma_f64 v[190:191], v[98:99], s[12:13], -v[152:153]
	v_fma_f64 v[34:35], v[98:99], s[2:3], v[34:35]
	v_fma_f64 v[178:179], v[22:23], s[16:17], v[56:57]
	v_fma_f64 v[56:57], v[22:23], s[16:17], -v[56:57]
	v_add_co_u32 v54, vcc_lo, v62, v54
	v_add_f64_e32 v[0:1], v[0:1], v[12:13]
	v_add_f64_e32 v[8:9], v[10:11], v[8:9]
	v_fma_f64 v[10:11], v[86:87], s[12:13], v[138:139]
	v_add_f64_e32 v[204:205], v[48:49], v[204:205]
	v_fma_f64 v[138:139], v[86:87], s[12:13], -v[138:139]
	v_add_f64_e32 v[122:123], v[48:49], v[122:123]
	v_add_f64_e32 v[46:47], v[48:49], v[46:47]
	v_fma_f64 v[48:49], v[88:89], s[12:13], v[144:145]
	v_fma_f64 v[144:145], v[86:87], s[16:17], v[28:29]
	v_fma_f64 v[28:29], v[86:87], s[16:17], -v[28:29]
	v_fma_f64 v[86:87], v[88:89], s[16:17], -v[32:33]
	v_fma_f64 v[32:33], v[88:89], s[16:17], v[32:33]
	v_add_f64_e32 v[24:25], v[24:25], v[200:201]
	v_fma_f64 v[12:13], v[88:89], s[2:3], -v[132:133]
	v_fma_f64 v[132:133], v[88:89], s[2:3], v[132:133]
	v_add_f64_e32 v[50:51], v[182:183], v[50:51]
	v_add_f64_e32 v[110:111], v[110:111], v[112:113]
	v_add_f64_e32 v[20:21], v[20:21], v[194:195]
	v_mul_f64_e32 v[88:89], s[6:7], v[94:95]
	v_mul_f64_e32 v[94:95], s[24:25], v[94:95]
	v_add_f64_e32 v[44:45], v[136:137], v[44:45]
	v_fma_f64 v[136:137], v[96:97], s[0:1], -v[158:159]
	v_fma_f64 v[182:183], v[96:97], s[2:3], v[58:59]
	v_fma_f64 v[58:59], v[96:97], s[2:3], -v[58:59]
	v_fma_f64 v[112:113], v[96:97], s[12:13], v[150:151]
	v_fma_f64 v[150:151], v[96:97], s[12:13], -v[150:151]
	v_add_f64_e32 v[102:103], v[102:103], v[104:105]
	s_wait_alu 0xfffd
	v_add_co_ci_u32_e32 v55, vcc_lo, v63, v55, vcc_lo
	v_add_co_u32 v64, vcc_lo, v62, v64
	s_wait_alu 0xfffd
	v_add_co_ci_u32_e32 v65, vcc_lo, v63, v65, vcc_lo
	v_add_co_u32 v66, vcc_lo, v62, v66
	s_wait_alu 0xfffd
	v_add_co_ci_u32_e32 v67, vcc_lo, v63, v67, vcc_lo
	v_add_f64_e32 v[0:1], v[2:3], v[0:1]
	v_add_f64_e32 v[2:3], v[30:31], v[8:9]
	;; [unrolled: 1-line block ×12, first 2 shown]
	v_fma_f64 v[130:131], v[96:97], s[0:1], v[158:159]
	v_fma_f64 v[158:159], v[96:97], s[14:15], v[90:91]
	v_fma_f64 v[90:91], v[96:97], s[14:15], -v[90:91]
	v_add_f64_e32 v[24:25], v[28:29], v[24:25]
	v_fma_f64 v[142:143], v[96:97], s[16:17], v[162:163]
	v_fma_f64 v[148:149], v[96:97], s[16:17], -v[162:163]
	v_fma_f64 v[96:97], v[98:99], s[14:15], -v[92:93]
	v_fma_f64 v[92:93], v[98:99], s[14:15], v[92:93]
	v_fma_f64 v[46:47], v[98:99], s[12:13], v[152:153]
	v_fma_f64 v[134:135], v[98:99], s[0:1], -v[160:161]
	v_fma_f64 v[140:141], v[98:99], s[0:1], v[160:161]
	v_fma_f64 v[152:153], v[98:99], s[16:17], v[164:165]
	v_add_f64_e32 v[160:161], v[174:175], v[176:177]
	v_add_f64_e32 v[50:51], v[180:181], v[50:51]
	;; [unrolled: 1-line block ×7, first 2 shown]
	v_fma_f64 v[146:147], v[98:99], s[16:17], -v[164:165]
	v_fma_f64 v[98:99], v[100:101], s[16:17], -v[154:155]
	v_fma_f64 v[154:155], v[100:101], s[16:17], v[154:155]
	v_fma_f64 v[44:45], v[22:23], s[2:3], -v[156:157]
	v_add_f64_e32 v[58:59], v[58:59], v[102:103]
	v_add_f64_e32 v[0:1], v[4:5], v[0:1]
	;; [unrolled: 1-line block ×14, first 2 shown]
	v_fma_f64 v[126:127], v[22:23], s[12:13], v[82:83]
	v_fma_f64 v[128:129], v[100:101], s[12:13], -v[94:95]
	v_add_f64_e32 v[24:25], v[90:91], v[24:25]
	v_fma_f64 v[82:83], v[22:23], s[12:13], -v[82:83]
	v_fma_f64 v[94:95], v[100:101], s[12:13], v[94:95]
	v_fma_f64 v[36:37], v[22:23], s[2:3], v[156:157]
	v_fma_f64 v[40:41], v[100:101], s[2:3], -v[166:167]
	v_fma_f64 v[48:49], v[100:101], s[2:3], v[166:167]
	v_fma_f64 v[52:53], v[22:23], s[14:15], v[168:169]
	v_fma_f64 v[60:61], v[100:101], s[14:15], -v[170:171]
	v_fma_f64 v[86:87], v[22:23], s[14:15], -v[168:169]
	v_fma_f64 v[118:119], v[100:101], s[14:15], v[170:171]
	v_fma_f64 v[120:121], v[22:23], s[0:1], v[172:173]
	v_fma_f64 v[122:123], v[100:101], s[0:1], -v[88:89]
	v_fma_f64 v[124:125], v[22:23], s[0:1], -v[172:173]
	v_fma_f64 v[88:89], v[100:101], s[0:1], v[88:89]
	v_add_f64_e32 v[22:23], v[182:183], v[160:161]
	v_add_f64_e32 v[50:51], v[106:107], v[50:51]
	;; [unrolled: 1-line block ×28, first 2 shown]
	v_add_co_u32 v44, vcc_lo, v62, v68
	s_wait_alu 0xfffd
	v_add_co_ci_u32_e32 v45, vcc_lo, v63, v69, vcc_lo
	v_add_f64_e32 v[30:31], v[16:17], v[90:91]
	v_add_f64_e32 v[28:29], v[38:39], v[42:43]
	;; [unrolled: 1-line block ×14, first 2 shown]
	v_add_co_u32 v46, vcc_lo, v62, v70
	s_wait_alu 0xfffd
	v_add_co_ci_u32_e32 v47, vcc_lo, v63, v71, vcc_lo
	v_add_co_u32 v48, vcc_lo, v62, v72
	s_wait_alu 0xfffd
	v_add_co_ci_u32_e32 v49, vcc_lo, v63, v73, vcc_lo
	;; [unrolled: 3-line block ×6, first 2 shown]
	s_clause 0xa
	global_store_b128 v[80:81], v[28:31], off
	global_store_b128 v[54:55], v[24:27], off
	;; [unrolled: 1-line block ×11, first 2 shown]
.LBB0_29:
	s_nop 0
	s_sendmsg sendmsg(MSG_DEALLOC_VGPRS)
	s_endpgm
	.section	.rodata,"a",@progbits
	.p2align	6, 0x0
	.amdhsa_kernel fft_rtc_back_len1210_factors_2_5_11_11_wgs_110_tpt_110_halfLds_dp_ip_CI_sbrr_dirReg
		.amdhsa_group_segment_fixed_size 0
		.amdhsa_private_segment_fixed_size 0
		.amdhsa_kernarg_size 88
		.amdhsa_user_sgpr_count 2
		.amdhsa_user_sgpr_dispatch_ptr 0
		.amdhsa_user_sgpr_queue_ptr 0
		.amdhsa_user_sgpr_kernarg_segment_ptr 1
		.amdhsa_user_sgpr_dispatch_id 0
		.amdhsa_user_sgpr_private_segment_size 0
		.amdhsa_wavefront_size32 1
		.amdhsa_uses_dynamic_stack 0
		.amdhsa_enable_private_segment 0
		.amdhsa_system_sgpr_workgroup_id_x 1
		.amdhsa_system_sgpr_workgroup_id_y 0
		.amdhsa_system_sgpr_workgroup_id_z 0
		.amdhsa_system_sgpr_workgroup_info 0
		.amdhsa_system_vgpr_workitem_id 0
		.amdhsa_next_free_vgpr 212
		.amdhsa_next_free_sgpr 38
		.amdhsa_reserve_vcc 1
		.amdhsa_float_round_mode_32 0
		.amdhsa_float_round_mode_16_64 0
		.amdhsa_float_denorm_mode_32 3
		.amdhsa_float_denorm_mode_16_64 3
		.amdhsa_fp16_overflow 0
		.amdhsa_workgroup_processor_mode 1
		.amdhsa_memory_ordered 1
		.amdhsa_forward_progress 0
		.amdhsa_round_robin_scheduling 0
		.amdhsa_exception_fp_ieee_invalid_op 0
		.amdhsa_exception_fp_denorm_src 0
		.amdhsa_exception_fp_ieee_div_zero 0
		.amdhsa_exception_fp_ieee_overflow 0
		.amdhsa_exception_fp_ieee_underflow 0
		.amdhsa_exception_fp_ieee_inexact 0
		.amdhsa_exception_int_div_zero 0
	.end_amdhsa_kernel
	.text
.Lfunc_end0:
	.size	fft_rtc_back_len1210_factors_2_5_11_11_wgs_110_tpt_110_halfLds_dp_ip_CI_sbrr_dirReg, .Lfunc_end0-fft_rtc_back_len1210_factors_2_5_11_11_wgs_110_tpt_110_halfLds_dp_ip_CI_sbrr_dirReg
                                        ; -- End function
	.section	.AMDGPU.csdata,"",@progbits
; Kernel info:
; codeLenInByte = 10864
; NumSgprs: 40
; NumVgprs: 212
; ScratchSize: 0
; MemoryBound: 1
; FloatMode: 240
; IeeeMode: 1
; LDSByteSize: 0 bytes/workgroup (compile time only)
; SGPRBlocks: 4
; VGPRBlocks: 26
; NumSGPRsForWavesPerEU: 40
; NumVGPRsForWavesPerEU: 212
; Occupancy: 7
; WaveLimiterHint : 1
; COMPUTE_PGM_RSRC2:SCRATCH_EN: 0
; COMPUTE_PGM_RSRC2:USER_SGPR: 2
; COMPUTE_PGM_RSRC2:TRAP_HANDLER: 0
; COMPUTE_PGM_RSRC2:TGID_X_EN: 1
; COMPUTE_PGM_RSRC2:TGID_Y_EN: 0
; COMPUTE_PGM_RSRC2:TGID_Z_EN: 0
; COMPUTE_PGM_RSRC2:TIDIG_COMP_CNT: 0
	.text
	.p2alignl 7, 3214868480
	.fill 96, 4, 3214868480
	.type	__hip_cuid_99e6a11474f521ec,@object ; @__hip_cuid_99e6a11474f521ec
	.section	.bss,"aw",@nobits
	.globl	__hip_cuid_99e6a11474f521ec
__hip_cuid_99e6a11474f521ec:
	.byte	0                               ; 0x0
	.size	__hip_cuid_99e6a11474f521ec, 1

	.ident	"AMD clang version 19.0.0git (https://github.com/RadeonOpenCompute/llvm-project roc-6.4.0 25133 c7fe45cf4b819c5991fe208aaa96edf142730f1d)"
	.section	".note.GNU-stack","",@progbits
	.addrsig
	.addrsig_sym __hip_cuid_99e6a11474f521ec
	.amdgpu_metadata
---
amdhsa.kernels:
  - .args:
      - .actual_access:  read_only
        .address_space:  global
        .offset:         0
        .size:           8
        .value_kind:     global_buffer
      - .offset:         8
        .size:           8
        .value_kind:     by_value
      - .actual_access:  read_only
        .address_space:  global
        .offset:         16
        .size:           8
        .value_kind:     global_buffer
      - .actual_access:  read_only
        .address_space:  global
        .offset:         24
        .size:           8
        .value_kind:     global_buffer
      - .offset:         32
        .size:           8
        .value_kind:     by_value
      - .actual_access:  read_only
        .address_space:  global
        .offset:         40
        .size:           8
        .value_kind:     global_buffer
      - .actual_access:  read_only
        .address_space:  global
        .offset:         48
        .size:           8
        .value_kind:     global_buffer
      - .offset:         56
        .size:           4
        .value_kind:     by_value
      - .actual_access:  read_only
        .address_space:  global
        .offset:         64
        .size:           8
        .value_kind:     global_buffer
      - .actual_access:  read_only
        .address_space:  global
        .offset:         72
        .size:           8
        .value_kind:     global_buffer
      - .address_space:  global
        .offset:         80
        .size:           8
        .value_kind:     global_buffer
    .group_segment_fixed_size: 0
    .kernarg_segment_align: 8
    .kernarg_segment_size: 88
    .language:       OpenCL C
    .language_version:
      - 2
      - 0
    .max_flat_workgroup_size: 110
    .name:           fft_rtc_back_len1210_factors_2_5_11_11_wgs_110_tpt_110_halfLds_dp_ip_CI_sbrr_dirReg
    .private_segment_fixed_size: 0
    .sgpr_count:     40
    .sgpr_spill_count: 0
    .symbol:         fft_rtc_back_len1210_factors_2_5_11_11_wgs_110_tpt_110_halfLds_dp_ip_CI_sbrr_dirReg.kd
    .uniform_work_group_size: 1
    .uses_dynamic_stack: false
    .vgpr_count:     212
    .vgpr_spill_count: 0
    .wavefront_size: 32
    .workgroup_processor_mode: 1
amdhsa.target:   amdgcn-amd-amdhsa--gfx1201
amdhsa.version:
  - 1
  - 2
...

	.end_amdgpu_metadata
